;; amdgpu-corpus repo=ROCm/rocFFT kind=compiled arch=gfx1100 opt=O3
	.text
	.amdgcn_target "amdgcn-amd-amdhsa--gfx1100"
	.amdhsa_code_object_version 6
	.protected	bluestein_single_back_len676_dim1_dp_op_CI_CI ; -- Begin function bluestein_single_back_len676_dim1_dp_op_CI_CI
	.globl	bluestein_single_back_len676_dim1_dp_op_CI_CI
	.p2align	8
	.type	bluestein_single_back_len676_dim1_dp_op_CI_CI,@function
bluestein_single_back_len676_dim1_dp_op_CI_CI: ; @bluestein_single_back_len676_dim1_dp_op_CI_CI
; %bb.0:
	s_load_b128 s[16:19], s[0:1], 0x28
	v_mul_u32_u24_e32 v1, 0x4ed, v0
	s_mov_b32 s2, exec_lo
	v_mov_b32_e32 v7, 0
	s_delay_alu instid0(VALU_DEP_2) | instskip(NEXT) | instid1(VALU_DEP_1)
	v_lshrrev_b32_e32 v1, 16, v1
	v_add_nc_u32_e32 v6, s15, v1
	s_waitcnt lgkmcnt(0)
	s_delay_alu instid0(VALU_DEP_1)
	v_cmpx_gt_u64_e64 s[16:17], v[6:7]
	s_cbranch_execz .LBB0_10
; %bb.1:
	s_clause 0x1
	s_load_b128 s[4:7], s[0:1], 0x18
	s_load_b128 s[8:11], s[0:1], 0x0
	v_mul_lo_u16 v1, v1, 52
	s_mov_b32 s44, 0x4267c47c
	s_mov_b32 s26, 0x42a4c3d2
	;; [unrolled: 1-line block ×4, first 2 shown]
	v_sub_nc_u16 v215, v0, v1
	s_mov_b32 s20, 0x24c2f84
	s_mov_b32 s45, 0xbfddbe06
	;; [unrolled: 1-line block ×3, first 2 shown]
	s_delay_alu instid0(VALU_DEP_1)
	v_dual_mov_b32 v4, v6 :: v_dual_and_b32 v7, 0xffff, v215
	s_mov_b32 s25, 0xbfefc445
	s_mov_b32 s23, 0xbfedeba7
	;; [unrolled: 1-line block ×3, first 2 shown]
	s_clause 0x1
	scratch_store_b64 off, v[4:5], off offset:4
	scratch_store_b32 off, v7, off
	s_mov_b32 s28, 0xe00740e9
	s_mov_b32 s16, 0x1ea71119
	s_waitcnt lgkmcnt(0)
	s_load_b128 s[12:15], s[4:5], 0x0
	s_mov_b32 s29, 0x3fec55a7
	s_mov_b32 s17, 0x3fe22d96
	;; [unrolled: 1-line block ×13, first 2 shown]
	v_lshlrev_b32_e32 v254, 4, v7
	s_waitcnt lgkmcnt(0)
	v_mad_u64_u32 v[0:1], null, s14, v6, 0
	v_mad_u64_u32 v[2:3], null, s12, v7, 0
	s_mul_i32 s3, s13, 0x340
	s_mul_hi_u32 s4, s12, 0x340
	s_mul_i32 s2, s12, 0x340
	s_add_i32 s3, s4, s3
	v_add_co_u32 v192, s4, s8, v254
	s_delay_alu instid0(VALU_DEP_2) | instskip(SKIP_2) | instid1(VALU_DEP_1)
	v_mad_u64_u32 v[4:5], null, s15, v6, v[1:2]
	s_mov_b32 s14, 0xebaa3ed8
	s_mov_b32 s15, 0x3fbedb7d
	v_mad_u64_u32 v[5:6], null, s13, v7, v[3:4]
	v_mov_b32_e32 v1, v4
	s_mov_b32 s12, 0xb2365da1
	s_mov_b32 s13, 0xbfd6b1d8
	s_delay_alu instid0(VALU_DEP_1) | instskip(NEXT) | instid1(VALU_DEP_3)
	v_lshlrev_b64 v[0:1], 4, v[0:1]
	v_mov_b32_e32 v3, v5
	s_delay_alu instid0(VALU_DEP_2) | instskip(NEXT) | instid1(VALU_DEP_2)
	v_add_co_u32 v0, vcc_lo, s18, v0
	v_lshlrev_b64 v[2:3], 4, v[2:3]
	s_delay_alu instid0(VALU_DEP_4) | instskip(SKIP_3) | instid1(VALU_DEP_2)
	v_add_co_ci_u32_e32 v1, vcc_lo, s19, v1, vcc_lo
	s_mov_b32 s18, 0x4bc48dbf
	s_mov_b32 s19, 0xbfcea1e5
	;; [unrolled: 1-line block ×3, first 2 shown]
	v_add_co_u32 v0, vcc_lo, v0, v2
	v_add_co_ci_u32_e32 v1, vcc_lo, v1, v3, vcc_lo
	s_delay_alu instid0(VALU_DEP_2) | instskip(NEXT) | instid1(VALU_DEP_2)
	v_add_co_u32 v2, vcc_lo, v0, s2
	v_add_co_ci_u32_e32 v3, vcc_lo, s3, v1, vcc_lo
	global_load_b128 v[12:15], v[0:1], off
	s_clause 0x1
	global_load_b128 v[8:11], v254, s[8:9]
	global_load_b128 v[4:7], v254, s[8:9] offset:832
	global_load_b128 v[16:19], v[2:3], off
	v_add_co_u32 v24, vcc_lo, v2, s2
	v_add_co_ci_u32_e32 v25, vcc_lo, s3, v3, vcc_lo
	global_load_b128 v[0:3], v254, s[8:9] offset:1664
	global_load_b128 v[20:23], v[24:25], off
	v_add_co_u32 v24, vcc_lo, v24, s2
	v_add_co_ci_u32_e32 v25, vcc_lo, s3, v25, vcc_lo
	s_waitcnt vmcnt(4)
	v_mul_f64 v[26:27], v[14:15], v[10:11]
	v_mul_f64 v[28:29], v[12:13], v[10:11]
	s_waitcnt vmcnt(2)
	v_mul_f64 v[30:31], v[18:19], v[6:7]
	v_mul_f64 v[32:33], v[16:17], v[6:7]
	scratch_store_b128 off, v[8:11], off offset:44 ; 16-byte Folded Spill
	v_fma_f64 v[52:53], v[12:13], v[8:9], v[26:27]
	v_fma_f64 v[54:55], v[14:15], v[8:9], -v[28:29]
	global_load_b128 v[8:11], v254, s[8:9] offset:2496
	v_fma_f64 v[56:57], v[16:17], v[4:5], v[30:31]
	v_fma_f64 v[58:59], v[18:19], v[4:5], -v[32:33]
	global_load_b128 v[16:19], v[24:25], off
	s_waitcnt vmcnt(2)
	v_mul_f64 v[26:27], v[22:23], v[2:3]
	v_mul_f64 v[28:29], v[20:21], v[2:3]
	v_add_co_u32 v24, vcc_lo, v24, s2
	v_add_co_ci_u32_e32 v25, vcc_lo, s3, v25, vcc_lo
	s_clause 0x1
	scratch_store_b128 off, v[4:7], off offset:28
	scratch_store_b128 off, v[0:3], off offset:12
	v_add_co_u32 v32, vcc_lo, v24, s2
	v_add_co_ci_u32_e32 v33, vcc_lo, s3, v25, vcc_lo
	v_add_co_u32 v40, vcc_lo, 0x1000, v192
	v_fma_f64 v[60:61], v[20:21], v[0:1], v[26:27]
	v_fma_f64 v[62:63], v[22:23], v[0:1], -v[28:29]
	s_waitcnt vmcnt(1)
	scratch_store_b128 off, v[8:11], off offset:60 ; 16-byte Folded Spill
	s_waitcnt vmcnt(0)
	v_mul_f64 v[20:21], v[18:19], v[10:11]
	v_mul_f64 v[22:23], v[16:17], v[10:11]
	s_delay_alu instid0(VALU_DEP_2) | instskip(NEXT) | instid1(VALU_DEP_2)
	v_fma_f64 v[64:65], v[16:17], v[8:9], v[20:21]
	v_fma_f64 v[66:67], v[18:19], v[8:9], -v[22:23]
	global_load_b128 v[0:3], v254, s[8:9] offset:3328
	global_load_b128 v[20:23], v[24:25], off
	v_add_co_ci_u32_e64 v8, null, s9, 0, s4
	s_mov_b32 s8, 0xd0032e0c
	s_mov_b32 s9, 0xbfe7f3cc
	s_delay_alu instid0(VALU_DEP_1)
	v_add_co_ci_u32_e32 v41, vcc_lo, 0, v8, vcc_lo
	s_waitcnt vmcnt(1)
	scratch_store_b128 off, v[0:3], off offset:76 ; 16-byte Folded Spill
	s_waitcnt vmcnt(0)
	v_mul_f64 v[26:27], v[22:23], v[2:3]
	v_mul_f64 v[28:29], v[20:21], v[2:3]
	s_delay_alu instid0(VALU_DEP_2) | instskip(NEXT) | instid1(VALU_DEP_2)
	v_fma_f64 v[68:69], v[20:21], v[0:1], v[26:27]
	v_fma_f64 v[70:71], v[22:23], v[0:1], -v[28:29]
	global_load_b128 v[28:31], v[32:33], off
	s_clause 0x1
	global_load_b128 v[0:3], v[40:41], off offset:64
	global_load_b128 v[4:7], v[40:41], off offset:896
	v_add_co_u32 v32, vcc_lo, v32, s2
	v_add_co_ci_u32_e32 v33, vcc_lo, s3, v33, vcc_lo
	s_delay_alu instid0(VALU_DEP_2) | instskip(NEXT) | instid1(VALU_DEP_2)
	v_add_co_u32 v42, vcc_lo, v32, s2
	v_add_co_ci_u32_e32 v43, vcc_lo, s3, v33, vcc_lo
	s_waitcnt vmcnt(1)
	v_mul_f64 v[34:35], v[30:31], v[2:3]
	v_mul_f64 v[36:37], v[28:29], v[2:3]
	scratch_store_b128 off, v[0:3], off offset:92 ; 16-byte Folded Spill
	s_waitcnt vmcnt(0)
	scratch_store_b128 off, v[4:7], off offset:108 ; 16-byte Folded Spill
	v_fma_f64 v[72:73], v[28:29], v[0:1], v[34:35]
	v_fma_f64 v[74:75], v[30:31], v[0:1], -v[36:37]
	global_load_b128 v[28:31], v[32:33], off
	s_waitcnt vmcnt(0)
	v_mul_f64 v[34:35], v[30:31], v[6:7]
	v_mul_f64 v[36:37], v[28:29], v[6:7]
	s_delay_alu instid0(VALU_DEP_2) | instskip(NEXT) | instid1(VALU_DEP_2)
	v_fma_f64 v[76:77], v[28:29], v[4:5], v[34:35]
	v_fma_f64 v[78:79], v[30:31], v[4:5], -v[36:37]
	global_load_b128 v[36:39], v[42:43], off
	s_clause 0x1
	global_load_b128 v[0:3], v[40:41], off offset:1728
	global_load_b128 v[4:7], v[40:41], off offset:2560
	v_add_co_u32 v42, vcc_lo, v42, s2
	v_add_co_ci_u32_e32 v43, vcc_lo, s3, v43, vcc_lo
	s_waitcnt vmcnt(1)
	v_mul_f64 v[44:45], v[38:39], v[2:3]
	v_mul_f64 v[46:47], v[36:37], v[2:3]
	scratch_store_b128 off, v[0:3], off offset:124 ; 16-byte Folded Spill
	s_waitcnt vmcnt(0)
	scratch_store_b128 off, v[4:7], off offset:140 ; 16-byte Folded Spill
	v_fma_f64 v[80:81], v[36:37], v[0:1], v[44:45]
	v_fma_f64 v[82:83], v[38:39], v[0:1], -v[46:47]
	global_load_b128 v[36:39], v[42:43], off
	s_waitcnt vmcnt(0)
	v_mul_f64 v[44:45], v[38:39], v[6:7]
	v_mul_f64 v[46:47], v[36:37], v[6:7]
	s_delay_alu instid0(VALU_DEP_2)
	v_fma_f64 v[84:85], v[36:37], v[4:5], v[44:45]
	v_add_co_u32 v44, vcc_lo, v42, s2
	v_add_co_ci_u32_e32 v45, vcc_lo, s3, v43, vcc_lo
	global_load_b128 v[0:3], v[40:41], off offset:3392
	global_load_b128 v[40:43], v[44:45], off
	v_fma_f64 v[86:87], v[38:39], v[4:5], -v[46:47]
	v_add_co_u32 v96, vcc_lo, v44, s2
	v_add_co_ci_u32_e32 v97, vcc_lo, s3, v45, vcc_lo
	v_add_co_u32 v9, vcc_lo, 0x2000, v192
	v_add_co_ci_u32_e32 v10, vcc_lo, 0, v8, vcc_lo
	s_delay_alu instid0(VALU_DEP_4) | instskip(NEXT) | instid1(VALU_DEP_4)
	v_add_co_u32 v100, vcc_lo, v96, s2
	v_add_co_ci_u32_e32 v101, vcc_lo, s3, v97, vcc_lo
	scratch_store_b32 off, v8, off offset:364 ; 4-byte Folded Spill
	s_waitcnt vmcnt(1)
	scratch_store_b128 off, v[0:3], off offset:156 ; 16-byte Folded Spill
	s_waitcnt vmcnt(0)
	v_mul_f64 v[46:47], v[42:43], v[2:3]
	v_mul_f64 v[48:49], v[40:41], v[2:3]
	s_delay_alu instid0(VALU_DEP_2) | instskip(NEXT) | instid1(VALU_DEP_2)
	v_fma_f64 v[88:89], v[40:41], v[0:1], v[46:47]
	v_fma_f64 v[90:91], v[42:43], v[0:1], -v[48:49]
	global_load_b128 v[48:51], v[96:97], off
	s_clause 0x1
	global_load_b128 v[0:3], v[9:10], off offset:128
	global_load_b128 v[4:7], v[9:10], off offset:960
	s_waitcnt vmcnt(1)
	v_mul_f64 v[92:93], v[50:51], v[2:3]
	v_mul_f64 v[94:95], v[48:49], v[2:3]
	scratch_store_b128 off, v[0:3], off offset:172 ; 16-byte Folded Spill
	s_waitcnt vmcnt(0)
	scratch_store_b128 off, v[4:7], off offset:188 ; 16-byte Folded Spill
	v_fma_f64 v[92:93], v[48:49], v[0:1], v[92:93]
	v_fma_f64 v[94:95], v[50:51], v[0:1], -v[94:95]
	global_load_b128 v[48:51], v[100:101], off
	global_load_b128 v[0:3], v[9:10], off offset:1792
	scratch_store_b64 off, v[9:10], off offset:368 ; 8-byte Folded Spill
	s_waitcnt vmcnt(1)
	v_mul_f64 v[96:97], v[50:51], v[6:7]
	s_waitcnt vmcnt(0)
	scratch_store_b128 off, v[0:3], off offset:204 ; 16-byte Folded Spill
	v_mul_f64 v[98:99], v[48:49], v[6:7]
	v_fma_f64 v[96:97], v[48:49], v[4:5], v[96:97]
	v_add_co_u32 v48, vcc_lo, v100, s2
	v_add_co_ci_u32_e32 v49, vcc_lo, s3, v101, vcc_lo
	s_delay_alu instid0(VALU_DEP_4)
	v_fma_f64 v[98:99], v[50:51], v[4:5], -v[98:99]
	s_mov_b32 s2, 0x93053d00
	s_mov_b32 s3, 0xbfef11f4
	global_load_b128 v[100:103], v[48:49], off
	v_cmp_gt_u16_e64 vcc_lo, 13, v215
	s_waitcnt vmcnt(0)
	v_mul_f64 v[104:105], v[102:103], v[2:3]
	v_mul_f64 v[106:107], v[100:101], v[2:3]
	s_delay_alu instid0(VALU_DEP_2) | instskip(NEXT) | instid1(VALU_DEP_2)
	v_fma_f64 v[100:101], v[100:101], v[0:1], v[104:105]
	v_fma_f64 v[102:103], v[102:103], v[0:1], -v[106:107]
	v_mul_lo_u16 v0, v215, 13
	ds_store_b128 v254, v[52:55]
	ds_store_b128 v254, v[56:59] offset:832
	ds_store_b128 v254, v[60:63] offset:1664
	;; [unrolled: 1-line block ×12, first 2 shown]
	s_load_b128 s[4:7], s[6:7], 0x0
	s_waitcnt lgkmcnt(0)
	s_waitcnt_vscnt null, 0x0
	s_barrier
	buffer_gl0_inv
	ds_load_b128 v[52:55], v254
	ds_load_b128 v[56:59], v254 offset:832
	ds_load_b128 v[60:63], v254 offset:1664
	;; [unrolled: 1-line block ×3, first 2 shown]
	v_and_b32_e32 v0, 0xffff, v0
	s_waitcnt lgkmcnt(2)
	v_add_f64 v[68:69], v[52:53], v[56:57]
	v_add_f64 v[70:71], v[54:55], v[58:59]
	s_waitcnt lgkmcnt(1)
	s_delay_alu instid0(VALU_DEP_2) | instskip(NEXT) | instid1(VALU_DEP_2)
	v_add_f64 v[68:69], v[68:69], v[60:61]
	v_add_f64 v[70:71], v[70:71], v[62:63]
	s_waitcnt lgkmcnt(0)
	s_delay_alu instid0(VALU_DEP_2) | instskip(NEXT) | instid1(VALU_DEP_2)
	v_add_f64 v[76:77], v[68:69], v[64:65]
	v_add_f64 v[78:79], v[70:71], v[66:67]
	ds_load_b128 v[68:71], v254 offset:3328
	ds_load_b128 v[72:75], v254 offset:4160
	;; [unrolled: 1-line block ×4, first 2 shown]
	s_waitcnt lgkmcnt(0)
	v_add_f64 v[84:85], v[80:81], -v[88:89]
	v_add_f64 v[86:87], v[82:83], -v[90:91]
	v_add_f64 v[76:77], v[76:77], v[68:69]
	v_add_f64 v[78:79], v[78:79], v[70:71]
	s_delay_alu instid0(VALU_DEP_4) | instskip(NEXT) | instid1(VALU_DEP_4)
	v_mul_f64 v[178:179], v[84:85], s[18:19]
	v_mul_f64 v[176:177], v[86:87], s[18:19]
	;; [unrolled: 1-line block ×8, first 2 shown]
	v_add_f64 v[76:77], v[76:77], v[72:73]
	v_add_f64 v[78:79], v[78:79], v[74:75]
	s_delay_alu instid0(VALU_DEP_2) | instskip(NEXT) | instid1(VALU_DEP_2)
	v_add_f64 v[92:93], v[76:77], v[80:81]
	v_add_f64 v[94:95], v[78:79], v[82:83]
	;; [unrolled: 1-line block ×4, first 2 shown]
	s_delay_alu instid0(VALU_DEP_4) | instskip(NEXT) | instid1(VALU_DEP_4)
	v_add_f64 v[100:101], v[92:93], v[88:89]
	v_add_f64 v[102:103], v[94:95], v[90:91]
	ds_load_b128 v[92:95], v254 offset:6656
	ds_load_b128 v[96:99], v254 offset:7488
	s_waitcnt lgkmcnt(1)
	v_add_f64 v[80:81], v[72:73], v[92:93]
	v_add_f64 v[82:83], v[74:75], v[94:95]
	v_add_f64 v[88:89], v[72:73], -v[92:93]
	v_add_f64 v[90:91], v[74:75], -v[94:95]
	s_waitcnt lgkmcnt(0)
	v_add_f64 v[72:73], v[68:69], v[96:97]
	v_add_f64 v[74:75], v[70:71], v[98:99]
	v_add_f64 v[68:69], v[68:69], -v[96:97]
	v_add_f64 v[70:71], v[70:71], -v[98:99]
	v_add_f64 v[92:93], v[100:101], v[92:93]
	v_add_f64 v[94:95], v[102:103], v[94:95]
	v_mul_f64 v[174:175], v[88:89], s[20:21]
	v_mul_f64 v[170:171], v[90:91], s[20:21]
	;; [unrolled: 1-line block ×15, first 2 shown]
	v_add_f64 v[104:105], v[92:93], v[96:97]
	v_add_f64 v[106:107], v[94:95], v[98:99]
	ds_load_b128 v[96:99], v254 offset:8320
	ds_load_b128 v[100:103], v254 offset:9152
	v_mul_f64 v[228:229], v[88:89], s[40:41]
	s_waitcnt lgkmcnt(1)
	v_add_f64 v[94:95], v[66:67], v[98:99]
	v_add_f64 v[66:67], v[66:67], -v[98:99]
	v_add_f64 v[92:93], v[64:65], v[96:97]
	v_add_f64 v[64:65], v[64:65], -v[96:97]
	s_waitcnt lgkmcnt(0)
	v_add_f64 v[114:115], v[62:63], -v[102:103]
	v_add_f64 v[62:63], v[62:63], v[102:103]
	v_add_f64 v[104:105], v[104:105], v[96:97]
	;; [unrolled: 1-line block ×3, first 2 shown]
	v_add_f64 v[96:97], v[60:61], -v[100:101]
	v_add_f64 v[60:61], v[60:61], v[100:101]
	v_mul_f64 v[162:163], v[66:67], s[24:25]
	v_mul_f64 v[164:165], v[64:65], s[24:25]
	;; [unrolled: 1-line block ×11, first 2 shown]
	v_add_f64 v[104:105], v[104:105], v[100:101]
	v_add_f64 v[102:103], v[98:99], v[102:103]
	ds_load_b128 v[98:101], v254 offset:9984
	v_mul_f64 v[160:161], v[96:97], s[26:27]
	v_mul_f64 v[182:183], v[96:97], s[22:23]
	s_waitcnt lgkmcnt(0)
	s_barrier
	buffer_gl0_inv
	v_add_f64 v[106:107], v[58:59], -v[100:101]
	v_add_f64 v[108:109], v[56:57], -v[98:99]
	v_add_f64 v[110:111], v[56:57], v[98:99]
	v_add_f64 v[112:113], v[58:59], v[100:101]
	;; [unrolled: 1-line block ×4, first 2 shown]
	v_mul_f64 v[98:99], v[106:107], s[44:45]
	v_mul_f64 v[100:101], v[106:107], s[26:27]
	;; [unrolled: 1-line block ×10, first 2 shown]
	v_fma_f64 v[118:119], v[110:111], s[28:29], -v[98:99]
	v_fma_f64 v[98:99], v[110:111], s[28:29], v[98:99]
	v_fma_f64 v[120:121], v[110:111], s[16:17], -v[100:101]
	v_fma_f64 v[100:101], v[110:111], s[16:17], v[100:101]
	v_fma_f64 v[122:123], v[110:111], s[14:15], -v[102:103]
	v_fma_f64 v[102:103], v[110:111], s[14:15], v[102:103]
	v_fma_f64 v[124:125], v[110:111], s[12:13], -v[104:105]
	v_fma_f64 v[104:105], v[110:111], s[12:13], v[104:105]
	v_fma_f64 v[126:127], v[110:111], s[8:9], -v[116:117]
	v_fma_f64 v[116:117], v[110:111], s[8:9], v[116:117]
	v_fma_f64 v[128:129], v[110:111], s[2:3], -v[106:107]
	v_fma_f64 v[106:107], v[110:111], s[2:3], v[106:107]
	v_mul_f64 v[110:111], v[108:109], s[44:45]
	v_mul_f64 v[108:109], v[108:109], s[18:19]
	v_fma_f64 v[140:141], v[112:113], s[16:17], v[130:131]
	v_fma_f64 v[142:143], v[112:113], s[14:15], v[132:133]
	v_fma_f64 v[130:131], v[112:113], s[16:17], -v[130:131]
	v_fma_f64 v[132:133], v[112:113], s[14:15], -v[132:133]
	v_fma_f64 v[144:145], v[112:113], s[12:13], v[134:135]
	v_fma_f64 v[134:135], v[112:113], s[12:13], -v[134:135]
	v_fma_f64 v[146:147], v[112:113], s[8:9], v[136:137]
	v_fma_f64 v[136:137], v[112:113], s[8:9], -v[136:137]
	v_add_f64 v[150:151], v[52:53], v[118:119]
	v_add_f64 v[98:99], v[52:53], v[98:99]
	;; [unrolled: 1-line block ×9, first 2 shown]
	v_fma_f64 v[138:139], v[112:113], s[28:29], v[110:111]
	v_fma_f64 v[110:111], v[112:113], s[28:29], -v[110:111]
	v_fma_f64 v[148:149], v[112:113], s[2:3], v[108:109]
	v_fma_f64 v[108:109], v[112:113], s[2:3], -v[108:109]
	v_add_f64 v[112:113], v[52:53], v[120:121]
	v_add_f64 v[118:119], v[54:55], v[140:141]
	;; [unrolled: 1-line block ×5, first 2 shown]
	v_fma_f64 v[52:53], v[60:61], s[16:17], v[158:159]
	v_add_f64 v[130:131], v[54:55], v[130:131]
	v_add_f64 v[132:133], v[54:55], v[132:133]
	;; [unrolled: 1-line block ×6, first 2 shown]
	v_fma_f64 v[100:101], v[62:63], s[12:13], v[182:183]
	v_add_f64 v[138:139], v[54:55], v[138:139]
	v_add_f64 v[110:111], v[54:55], v[110:111]
	;; [unrolled: 1-line block ×4, first 2 shown]
	v_fma_f64 v[54:55], v[62:63], s[16:17], -v[160:161]
	v_add_f64 v[52:53], v[52:53], v[98:99]
	v_fma_f64 v[98:99], v[92:93], s[14:15], v[162:163]
	v_add_f64 v[100:101], v[100:101], v[118:119]
	v_mul_f64 v[118:119], v[66:67], s[18:19]
	v_add_f64 v[54:55], v[54:55], v[110:111]
	s_delay_alu instid0(VALU_DEP_4) | instskip(SKIP_1) | instid1(VALU_DEP_4)
	v_add_f64 v[52:53], v[98:99], v[52:53]
	v_fma_f64 v[98:99], v[94:95], s[14:15], -v[164:165]
	v_fma_f64 v[102:103], v[92:93], s[2:3], -v[118:119]
	v_fma_f64 v[118:119], v[92:93], s[2:3], v[118:119]
	s_delay_alu instid0(VALU_DEP_3) | instskip(SKIP_1) | instid1(VALU_DEP_1)
	v_add_f64 v[54:55], v[98:99], v[54:55]
	v_fma_f64 v[98:99], v[72:73], s[12:13], v[166:167]
	v_add_f64 v[52:53], v[98:99], v[52:53]
	v_fma_f64 v[98:99], v[74:75], s[12:13], -v[168:169]
	s_delay_alu instid0(VALU_DEP_1) | instskip(SKIP_1) | instid1(VALU_DEP_1)
	v_add_f64 v[54:55], v[98:99], v[54:55]
	v_fma_f64 v[98:99], v[80:81], s[8:9], v[170:171]
	v_add_f64 v[52:53], v[98:99], v[52:53]
	v_fma_f64 v[98:99], v[82:83], s[8:9], -v[174:175]
	s_delay_alu instid0(VALU_DEP_1) | instskip(SKIP_1) | instid1(VALU_DEP_1)
	;; [unrolled: 5-line block ×3, first 2 shown]
	v_add_f64 v[54:55], v[98:99], v[54:55]
	v_fma_f64 v[98:99], v[60:61], s[12:13], -v[180:181]
	v_add_f64 v[98:99], v[98:99], v[112:113]
	s_delay_alu instid0(VALU_DEP_1) | instskip(SKIP_1) | instid1(VALU_DEP_1)
	v_add_f64 v[98:99], v[102:103], v[98:99]
	v_fma_f64 v[102:103], v[94:95], s[2:3], v[184:185]
	v_add_f64 v[100:101], v[102:103], v[100:101]
	v_fma_f64 v[102:103], v[72:73], s[8:9], -v[186:187]
	s_delay_alu instid0(VALU_DEP_1) | instskip(SKIP_1) | instid1(VALU_DEP_1)
	v_add_f64 v[98:99], v[102:103], v[98:99]
	v_fma_f64 v[102:103], v[74:75], s[8:9], v[188:189]
	v_add_f64 v[100:101], v[102:103], v[100:101]
	v_fma_f64 v[102:103], v[80:81], s[14:15], -v[190:191]
	;; [unrolled: 5-line block ×4, first 2 shown]
	s_delay_alu instid0(VALU_DEP_1) | instskip(SKIP_1) | instid1(VALU_DEP_1)
	v_add_f64 v[102:103], v[102:103], v[122:123]
	v_mul_f64 v[122:123], v[96:97], s[18:19]
	v_fma_f64 v[104:105], v[62:63], s[2:3], v[122:123]
	s_delay_alu instid0(VALU_DEP_1) | instskip(SKIP_1) | instid1(VALU_DEP_1)
	v_add_f64 v[104:105], v[104:105], v[140:141]
	v_mul_f64 v[140:141], v[66:67], s[42:43]
	v_fma_f64 v[106:107], v[92:93], s[12:13], -v[140:141]
	s_delay_alu instid0(VALU_DEP_1) | instskip(SKIP_1) | instid1(VALU_DEP_1)
	v_add_f64 v[102:103], v[106:107], v[102:103]
	v_fma_f64 v[106:107], v[94:95], s[12:13], v[201:202]
	v_add_f64 v[104:105], v[106:107], v[104:105]
	v_fma_f64 v[106:107], v[72:73], s[28:29], -v[203:204]
	s_delay_alu instid0(VALU_DEP_1) | instskip(SKIP_1) | instid1(VALU_DEP_1)
	v_add_f64 v[102:103], v[106:107], v[102:103]
	v_fma_f64 v[106:107], v[74:75], s[28:29], v[205:206]
	v_add_f64 v[104:105], v[106:107], v[104:105]
	;; [unrolled: 5-line block ×4, first 2 shown]
	v_fma_f64 v[106:107], v[60:61], s[8:9], -v[218:219]
	s_delay_alu instid0(VALU_DEP_1) | instskip(SKIP_1) | instid1(VALU_DEP_1)
	v_add_f64 v[106:107], v[106:107], v[124:125]
	v_mul_f64 v[124:125], v[96:97], s[36:37]
	v_fma_f64 v[108:109], v[62:63], s[8:9], v[124:125]
	s_delay_alu instid0(VALU_DEP_1) | instskip(SKIP_1) | instid1(VALU_DEP_1)
	v_add_f64 v[108:109], v[108:109], v[144:145]
	v_mul_f64 v[144:145], v[66:67], s[34:35]
	v_fma_f64 v[110:111], v[92:93], s[28:29], -v[144:145]
	s_delay_alu instid0(VALU_DEP_1) | instskip(SKIP_1) | instid1(VALU_DEP_1)
	v_add_f64 v[106:107], v[110:111], v[106:107]
	v_fma_f64 v[110:111], v[94:95], s[28:29], v[220:221]
	v_add_f64 v[108:109], v[110:111], v[108:109]
	v_fma_f64 v[110:111], v[72:73], s[14:15], -v[222:223]
	s_delay_alu instid0(VALU_DEP_1) | instskip(SKIP_1) | instid1(VALU_DEP_1)
	v_add_f64 v[106:107], v[110:111], v[106:107]
	v_fma_f64 v[110:111], v[74:75], s[14:15], v[224:225]
	v_add_f64 v[108:109], v[110:111], v[108:109]
	;; [unrolled: 5-line block ×4, first 2 shown]
	v_fma_f64 v[110:111], v[60:61], s[14:15], -v[234:235]
	s_delay_alu instid0(VALU_DEP_1) | instskip(SKIP_2) | instid1(VALU_DEP_2)
	v_add_f64 v[110:111], v[110:111], v[126:127]
	v_mul_f64 v[126:127], v[96:97], s[30:31]
	v_mul_f64 v[96:97], v[96:97], s[34:35]
	v_fma_f64 v[112:113], v[62:63], s[14:15], v[126:127]
	s_delay_alu instid0(VALU_DEP_1) | instskip(SKIP_1) | instid1(VALU_DEP_1)
	v_add_f64 v[112:113], v[112:113], v[146:147]
	v_mul_f64 v[146:147], v[66:67], s[26:27]
	v_fma_f64 v[236:237], v[92:93], s[16:17], -v[146:147]
	s_delay_alu instid0(VALU_DEP_1) | instskip(SKIP_1) | instid1(VALU_DEP_1)
	v_add_f64 v[110:111], v[236:237], v[110:111]
	v_mul_f64 v[236:237], v[64:65], s[26:27]
	v_fma_f64 v[238:239], v[94:95], s[16:17], v[236:237]
	s_delay_alu instid0(VALU_DEP_1) | instskip(SKIP_2) | instid1(VALU_DEP_2)
	v_add_f64 v[112:113], v[238:239], v[112:113]
	v_mul_f64 v[238:239], v[70:71], s[40:41]
	v_mul_f64 v[70:71], v[70:71], s[38:39]
	v_fma_f64 v[240:241], v[72:73], s[2:3], -v[238:239]
	s_delay_alu instid0(VALU_DEP_1) | instskip(SKIP_2) | instid1(VALU_DEP_2)
	v_add_f64 v[110:111], v[240:241], v[110:111]
	v_mul_f64 v[240:241], v[68:69], s[40:41]
	v_mul_f64 v[68:69], v[68:69], s[38:39]
	v_fma_f64 v[242:243], v[74:75], s[2:3], v[240:241]
	s_delay_alu instid0(VALU_DEP_1) | instskip(SKIP_2) | instid1(VALU_DEP_2)
	v_add_f64 v[112:113], v[242:243], v[112:113]
	v_mul_f64 v[242:243], v[90:91], s[34:35]
	v_mul_f64 v[90:91], v[90:91], s[22:23]
	v_fma_f64 v[244:245], v[80:81], s[28:29], -v[242:243]
	s_delay_alu instid0(VALU_DEP_1) | instskip(SKIP_2) | instid1(VALU_DEP_2)
	v_add_f64 v[110:111], v[244:245], v[110:111]
	v_mul_f64 v[244:245], v[88:89], s[34:35]
	v_mul_f64 v[88:89], v[88:89], s[22:23]
	v_fma_f64 v[246:247], v[82:83], s[28:29], v[244:245]
	s_delay_alu instid0(VALU_DEP_1) | instskip(SKIP_2) | instid1(VALU_DEP_2)
	v_add_f64 v[112:113], v[246:247], v[112:113]
	v_mul_f64 v[246:247], v[86:87], s[22:23]
	v_mul_f64 v[86:87], v[86:87], s[30:31]
	v_fma_f64 v[248:249], v[76:77], s[12:13], -v[246:247]
	s_delay_alu instid0(VALU_DEP_1) | instskip(SKIP_2) | instid1(VALU_DEP_2)
	v_add_f64 v[110:111], v[248:249], v[110:111]
	v_mul_f64 v[248:249], v[84:85], s[22:23]
	v_mul_f64 v[84:85], v[84:85], s[30:31]
	v_fma_f64 v[250:251], v[78:79], s[12:13], v[248:249]
	s_delay_alu instid0(VALU_DEP_1) | instskip(SKIP_2) | instid1(VALU_DEP_2)
	v_add_f64 v[112:113], v[250:251], v[112:113]
	v_fma_f64 v[250:251], v[60:61], s[28:29], -v[114:115]
	v_fma_f64 v[114:115], v[60:61], s[28:29], v[114:115]
	v_add_f64 v[128:129], v[250:251], v[128:129]
	v_fma_f64 v[250:251], v[62:63], s[28:29], v[96:97]
	v_fma_f64 v[96:97], v[62:63], s[28:29], -v[96:97]
	s_delay_alu instid0(VALU_DEP_4) | instskip(NEXT) | instid1(VALU_DEP_3)
	v_add_f64 v[114:115], v[114:115], v[154:155]
	v_add_f64 v[148:149], v[250:251], v[148:149]
	v_mul_f64 v[250:251], v[66:67], s[20:21]
	s_delay_alu instid0(VALU_DEP_4) | instskip(NEXT) | instid1(VALU_DEP_2)
	v_add_f64 v[96:97], v[96:97], v[156:157]
	v_fma_f64 v[66:67], v[92:93], s[8:9], -v[250:251]
	s_delay_alu instid0(VALU_DEP_1) | instskip(SKIP_1) | instid1(VALU_DEP_1)
	v_add_f64 v[66:67], v[66:67], v[128:129]
	v_mul_f64 v[128:129], v[64:65], s[20:21]
	v_fma_f64 v[64:65], v[94:95], s[8:9], v[128:129]
	v_fma_f64 v[128:129], v[94:95], s[8:9], -v[128:129]
	s_delay_alu instid0(VALU_DEP_2) | instskip(SKIP_1) | instid1(VALU_DEP_3)
	v_add_f64 v[64:65], v[64:65], v[148:149]
	v_fma_f64 v[148:149], v[72:73], s[16:17], -v[70:71]
	v_add_f64 v[96:97], v[128:129], v[96:97]
	v_fma_f64 v[70:71], v[72:73], s[16:17], v[70:71]
	s_delay_alu instid0(VALU_DEP_3) | instskip(SKIP_2) | instid1(VALU_DEP_2)
	v_add_f64 v[66:67], v[148:149], v[66:67]
	v_fma_f64 v[148:149], v[74:75], s[16:17], v[68:69]
	v_fma_f64 v[68:69], v[74:75], s[16:17], -v[68:69]
	v_add_f64 v[64:65], v[148:149], v[64:65]
	v_fma_f64 v[148:149], v[80:81], s[12:13], -v[90:91]
	s_delay_alu instid0(VALU_DEP_3) | instskip(SKIP_2) | instid1(VALU_DEP_4)
	v_add_f64 v[68:69], v[68:69], v[96:97]
	v_fma_f64 v[90:91], v[80:81], s[12:13], v[90:91]
	v_fma_f64 v[96:97], v[92:93], s[28:29], v[144:145]
	v_add_f64 v[66:67], v[148:149], v[66:67]
	v_fma_f64 v[148:149], v[82:83], s[12:13], v[88:89]
	v_fma_f64 v[88:89], v[82:83], s[12:13], -v[88:89]
	s_delay_alu instid0(VALU_DEP_2) | instskip(SKIP_1) | instid1(VALU_DEP_3)
	v_add_f64 v[148:149], v[148:149], v[64:65]
	v_fma_f64 v[64:65], v[76:77], s[14:15], -v[86:87]
	v_add_f64 v[88:89], v[88:89], v[68:69]
	v_fma_f64 v[68:69], v[76:77], s[14:15], v[86:87]
	v_fma_f64 v[86:87], v[62:63], s[14:15], -v[126:127]
	s_delay_alu instid0(VALU_DEP_4) | instskip(SKIP_2) | instid1(VALU_DEP_4)
	v_add_f64 v[64:65], v[64:65], v[66:67]
	v_fma_f64 v[66:67], v[78:79], s[14:15], v[84:85]
	v_fma_f64 v[84:85], v[78:79], s[14:15], -v[84:85]
	v_add_f64 v[86:87], v[86:87], v[136:137]
	s_delay_alu instid0(VALU_DEP_3) | instskip(SKIP_1) | instid1(VALU_DEP_1)
	v_add_f64 v[66:67], v[66:67], v[148:149]
	v_fma_f64 v[148:149], v[92:93], s[8:9], v[250:251]
	v_add_f64 v[114:115], v[148:149], v[114:115]
	s_delay_alu instid0(VALU_DEP_1) | instskip(SKIP_1) | instid1(VALU_DEP_2)
	v_add_f64 v[70:71], v[70:71], v[114:115]
	v_fma_f64 v[114:115], v[78:79], s[16:17], -v[232:233]
	v_add_f64 v[70:71], v[90:91], v[70:71]
	v_fma_f64 v[90:91], v[78:79], s[12:13], -v[248:249]
	s_delay_alu instid0(VALU_DEP_2) | instskip(SKIP_3) | instid1(VALU_DEP_2)
	v_add_f64 v[68:69], v[68:69], v[70:71]
	v_add_f64 v[70:71], v[84:85], v[88:89]
	v_fma_f64 v[84:85], v[60:61], s[14:15], v[234:235]
	v_fma_f64 v[88:89], v[92:93], s[16:17], v[146:147]
	v_add_f64 v[84:85], v[84:85], v[116:117]
	v_fma_f64 v[116:117], v[92:93], s[12:13], v[140:141]
	v_fma_f64 v[92:93], v[92:93], s[14:15], -v[162:163]
	s_delay_alu instid0(VALU_DEP_3) | instskip(SKIP_1) | instid1(VALU_DEP_1)
	v_add_f64 v[84:85], v[88:89], v[84:85]
	v_fma_f64 v[88:89], v[94:95], s[16:17], -v[236:237]
	v_add_f64 v[86:87], v[88:89], v[86:87]
	v_fma_f64 v[88:89], v[72:73], s[2:3], v[238:239]
	s_delay_alu instid0(VALU_DEP_1) | instskip(SKIP_1) | instid1(VALU_DEP_1)
	v_add_f64 v[84:85], v[88:89], v[84:85]
	v_fma_f64 v[88:89], v[74:75], s[2:3], -v[240:241]
	v_add_f64 v[86:87], v[88:89], v[86:87]
	v_fma_f64 v[88:89], v[80:81], s[28:29], v[242:243]
	s_delay_alu instid0(VALU_DEP_1) | instskip(SKIP_1) | instid1(VALU_DEP_1)
	v_add_f64 v[84:85], v[88:89], v[84:85]
	v_fma_f64 v[88:89], v[82:83], s[28:29], -v[244:245]
	v_add_f64 v[86:87], v[88:89], v[86:87]
	v_fma_f64 v[88:89], v[76:77], s[12:13], v[246:247]
	s_delay_alu instid0(VALU_DEP_2) | instskip(NEXT) | instid1(VALU_DEP_2)
	v_add_f64 v[86:87], v[90:91], v[86:87]
	v_add_f64 v[84:85], v[88:89], v[84:85]
	v_fma_f64 v[88:89], v[60:61], s[8:9], v[218:219]
	v_fma_f64 v[90:91], v[62:63], s[8:9], -v[124:125]
	s_delay_alu instid0(VALU_DEP_2) | instskip(NEXT) | instid1(VALU_DEP_2)
	v_add_f64 v[88:89], v[88:89], v[152:153]
	v_add_f64 v[90:91], v[90:91], v[134:135]
	s_delay_alu instid0(VALU_DEP_2) | instskip(SKIP_1) | instid1(VALU_DEP_1)
	v_add_f64 v[88:89], v[96:97], v[88:89]
	v_fma_f64 v[96:97], v[94:95], s[28:29], -v[220:221]
	v_add_f64 v[90:91], v[96:97], v[90:91]
	v_fma_f64 v[96:97], v[72:73], s[14:15], v[222:223]
	s_delay_alu instid0(VALU_DEP_1) | instskip(SKIP_1) | instid1(VALU_DEP_1)
	v_add_f64 v[88:89], v[96:97], v[88:89]
	v_fma_f64 v[96:97], v[74:75], s[14:15], -v[224:225]
	v_add_f64 v[90:91], v[96:97], v[90:91]
	v_fma_f64 v[96:97], v[80:81], s[2:3], v[226:227]
	s_delay_alu instid0(VALU_DEP_1) | instskip(SKIP_3) | instid1(VALU_DEP_1)
	v_add_f64 v[88:89], v[96:97], v[88:89]
	v_fma_f64 v[96:97], v[82:83], s[2:3], -v[228:229]
	v_lshlrev_b32_e32 v229, 4, v0
	v_and_b32_e32 v0, 0xff, v215
	v_mul_lo_u16 v0, 0x4f, v0
	s_delay_alu instid0(VALU_DEP_1) | instskip(NEXT) | instid1(VALU_DEP_1)
	v_lshrrev_b16 v228, 10, v0
	v_mul_lo_u16 v0, v228, 13
	s_delay_alu instid0(VALU_DEP_1) | instskip(NEXT) | instid1(VALU_DEP_1)
	v_sub_nc_u16 v0, v215, v0
	v_and_b32_e32 v255, 0xff, v0
	s_delay_alu instid0(VALU_DEP_1) | instskip(SKIP_2) | instid1(VALU_DEP_2)
	v_mul_u32_u24_e32 v0, 12, v255
	v_add_f64 v[90:91], v[96:97], v[90:91]
	v_fma_f64 v[96:97], v[76:77], s[16:17], v[230:231]
	v_add_f64 v[90:91], v[114:115], v[90:91]
	s_delay_alu instid0(VALU_DEP_2) | instskip(SKIP_3) | instid1(VALU_DEP_3)
	v_add_f64 v[88:89], v[96:97], v[88:89]
	v_fma_f64 v[96:97], v[60:61], s[2:3], v[199:200]
	v_fma_f64 v[114:115], v[62:63], s[2:3], -v[122:123]
	v_fma_f64 v[122:123], v[78:79], s[8:9], -v[216:217]
	v_add_f64 v[96:97], v[96:97], v[142:143]
	s_delay_alu instid0(VALU_DEP_3) | instskip(NEXT) | instid1(VALU_DEP_2)
	v_add_f64 v[114:115], v[114:115], v[132:133]
	v_add_f64 v[96:97], v[116:117], v[96:97]
	v_fma_f64 v[116:117], v[94:95], s[12:13], -v[201:202]
	s_delay_alu instid0(VALU_DEP_1) | instskip(SKIP_1) | instid1(VALU_DEP_1)
	v_add_f64 v[114:115], v[116:117], v[114:115]
	v_fma_f64 v[116:117], v[72:73], s[28:29], v[203:204]
	v_add_f64 v[96:97], v[116:117], v[96:97]
	v_fma_f64 v[116:117], v[74:75], s[28:29], -v[205:206]
	s_delay_alu instid0(VALU_DEP_1) | instskip(SKIP_1) | instid1(VALU_DEP_1)
	v_add_f64 v[114:115], v[116:117], v[114:115]
	v_fma_f64 v[116:117], v[80:81], s[16:17], v[207:208]
	v_add_f64 v[96:97], v[116:117], v[96:97]
	v_fma_f64 v[116:117], v[82:83], s[16:17], -v[209:210]
	s_delay_alu instid0(VALU_DEP_1) | instskip(SKIP_1) | instid1(VALU_DEP_2)
	v_add_f64 v[116:117], v[116:117], v[114:115]
	v_fma_f64 v[114:115], v[76:77], s[8:9], v[211:212]
	v_add_f64 v[116:117], v[122:123], v[116:117]
	s_delay_alu instid0(VALU_DEP_2) | instskip(SKIP_3) | instid1(VALU_DEP_3)
	v_add_f64 v[114:115], v[114:115], v[96:97]
	v_fma_f64 v[96:97], v[60:61], s[12:13], v[180:181]
	v_fma_f64 v[60:61], v[60:61], s[16:17], -v[158:159]
	v_fma_f64 v[122:123], v[78:79], s[28:29], -v[197:198]
	v_add_f64 v[96:97], v[96:97], v[120:121]
	v_fma_f64 v[120:121], v[62:63], s[12:13], -v[182:183]
	v_fma_f64 v[62:63], v[62:63], s[16:17], v[160:161]
	v_add_f64 v[60:61], v[60:61], v[150:151]
	s_delay_alu instid0(VALU_DEP_4) | instskip(NEXT) | instid1(VALU_DEP_4)
	v_add_f64 v[96:97], v[118:119], v[96:97]
	v_add_f64 v[120:121], v[120:121], v[130:131]
	v_fma_f64 v[118:119], v[94:95], s[2:3], -v[184:185]
	v_fma_f64 v[94:95], v[94:95], s[14:15], v[164:165]
	v_add_f64 v[62:63], v[62:63], v[138:139]
	v_add_f64 v[60:61], v[92:93], v[60:61]
	s_delay_alu instid0(VALU_DEP_4) | instskip(SKIP_3) | instid1(VALU_DEP_3)
	v_add_f64 v[118:119], v[118:119], v[120:121]
	v_fma_f64 v[120:121], v[72:73], s[8:9], v[186:187]
	v_fma_f64 v[72:73], v[72:73], s[12:13], -v[166:167]
	v_add_f64 v[62:63], v[94:95], v[62:63]
	v_add_f64 v[96:97], v[120:121], v[96:97]
	v_fma_f64 v[120:121], v[74:75], s[8:9], -v[188:189]
	v_fma_f64 v[74:75], v[74:75], s[12:13], v[168:169]
	v_add_f64 v[60:61], v[72:73], v[60:61]
	v_fma_f64 v[72:73], v[76:77], s[2:3], -v[176:177]
	s_delay_alu instid0(VALU_DEP_4) | instskip(SKIP_4) | instid1(VALU_DEP_4)
	v_add_f64 v[118:119], v[120:121], v[118:119]
	v_fma_f64 v[120:121], v[80:81], s[14:15], v[190:191]
	v_fma_f64 v[80:81], v[80:81], s[8:9], -v[170:171]
	v_add_f64 v[62:63], v[74:75], v[62:63]
	v_fma_f64 v[74:75], v[78:79], s[2:3], v[178:179]
	v_add_f64 v[96:97], v[120:121], v[96:97]
	v_fma_f64 v[120:121], v[82:83], s[14:15], -v[193:194]
	v_fma_f64 v[82:83], v[82:83], s[8:9], v[174:175]
	v_add_f64 v[60:61], v[80:81], v[60:61]
	s_delay_alu instid0(VALU_DEP_3) | instskip(SKIP_1) | instid1(VALU_DEP_4)
	v_add_f64 v[120:121], v[120:121], v[118:119]
	v_fma_f64 v[118:119], v[76:77], s[28:29], v[195:196]
	v_add_f64 v[62:63], v[82:83], v[62:63]
	s_delay_alu instid0(VALU_DEP_4) | instskip(NEXT) | instid1(VALU_DEP_4)
	v_add_f64 v[60:61], v[72:73], v[60:61]
	v_add_f64 v[120:121], v[122:123], v[120:121]
	s_delay_alu instid0(VALU_DEP_4) | instskip(NEXT) | instid1(VALU_DEP_4)
	v_add_f64 v[118:119], v[118:119], v[96:97]
	v_add_f64 v[62:63], v[74:75], v[62:63]
	v_lshlrev_b32_e32 v96, 4, v0
	ds_store_b128 v229, v[98:101] offset:32
	ds_store_b128 v229, v[102:105] offset:48
	;; [unrolled: 1-line block ×12, first 2 shown]
	ds_store_b128 v229, v[56:59]
	s_waitcnt lgkmcnt(0)
	s_barrier
	buffer_gl0_inv
	s_clause 0x1
	global_load_b128 v[0:3], v96, s[10:11]
	global_load_b128 v[4:7], v96, s[10:11] offset:16
	ds_load_b128 v[56:59], v254 offset:832
	ds_load_b128 v[201:204], v254
	s_waitcnt vmcnt(1) lgkmcnt(1)
	v_mul_f64 v[60:61], v[58:59], v[2:3]
	scratch_store_b128 off, v[0:3], off offset:220 ; 16-byte Folded Spill
	v_fma_f64 v[106:107], v[56:57], v[0:1], -v[60:61]
	v_mul_f64 v[56:57], v[56:57], v[2:3]
	s_delay_alu instid0(VALU_DEP_1)
	v_fma_f64 v[120:121], v[58:59], v[0:1], v[56:57]
	s_clause 0x1
	global_load_b128 v[0:3], v96, s[10:11] offset:176
	global_load_b128 v[8:11], v96, s[10:11] offset:160
	ds_load_b128 v[58:61], v254 offset:9984
	s_waitcnt vmcnt(1) lgkmcnt(0)
	v_mul_f64 v[56:57], v[58:59], v[2:3]
	scratch_store_b128 off, v[0:3], off offset:252 ; 16-byte Folded Spill
	v_fma_f64 v[56:57], v[60:61], v[0:1], v[56:57]
	v_mul_f64 v[60:61], v[60:61], v[2:3]
	s_delay_alu instid0(VALU_DEP_2) | instskip(NEXT) | instid1(VALU_DEP_2)
	v_add_f64 v[186:187], v[120:121], v[56:57]
	v_fma_f64 v[58:59], v[58:59], v[0:1], -v[60:61]
	ds_load_b128 v[60:63], v254 offset:1664
	ds_load_b128 v[76:79], v254 offset:2496
	scratch_store_b128 off, v[4:7], off offset:236 ; 16-byte Folded Spill
	ds_load_b128 v[68:71], v254 offset:9152
	ds_load_b128 v[102:105], v254 offset:8320
	s_waitcnt vmcnt(0)
	scratch_store_b128 off, v[8:11], off offset:268 ; 16-byte Folded Spill
	s_waitcnt lgkmcnt(3)
	v_mul_f64 v[64:65], v[60:61], v[6:7]
	v_add_f64 v[160:161], v[106:107], v[58:59]
	s_delay_alu instid0(VALU_DEP_2) | instskip(SKIP_1) | instid1(VALU_DEP_1)
	v_fma_f64 v[64:65], v[62:63], v[4:5], v[64:65]
	v_mul_f64 v[62:63], v[62:63], v[6:7]
	v_fma_f64 v[66:67], v[60:61], v[4:5], -v[62:63]
	s_clause 0x1
	global_load_b128 v[4:7], v96, s[10:11] offset:32
	global_load_b128 v[0:3], v96, s[10:11] offset:48
	s_waitcnt lgkmcnt(1)
	v_mul_f64 v[60:61], v[68:69], v[10:11]
	v_mul_f64 v[62:63], v[70:71], v[10:11]
	s_delay_alu instid0(VALU_DEP_2) | instskip(NEXT) | instid1(VALU_DEP_2)
	v_fma_f64 v[60:61], v[70:71], v[8:9], v[60:61]
	v_fma_f64 v[62:63], v[68:69], v[8:9], -v[62:63]
	s_waitcnt vmcnt(1)
	v_mul_f64 v[70:71], v[76:77], v[6:7]
	v_mul_f64 v[68:69], v[78:79], v[6:7]
	scratch_store_b128 off, v[4:7], off offset:332 ; 16-byte Folded Spill
	v_fma_f64 v[70:71], v[78:79], v[4:5], v[70:71]
	ds_load_b128 v[78:81], v254 offset:3328
	ds_load_b128 v[82:85], v254 offset:4160
	v_fma_f64 v[68:69], v[76:77], v[4:5], -v[68:69]
	s_waitcnt vmcnt(0)
	scratch_store_b128 off, v[0:3], off offset:284 ; 16-byte Folded Spill
	s_waitcnt lgkmcnt(1)
	v_mul_f64 v[76:77], v[80:81], v[2:3]
	s_delay_alu instid0(VALU_DEP_1) | instskip(SKIP_1) | instid1(VALU_DEP_1)
	v_fma_f64 v[76:77], v[78:79], v[0:1], -v[76:77]
	v_mul_f64 v[78:79], v[78:79], v[2:3]
	v_fma_f64 v[78:79], v[80:81], v[0:1], v[78:79]
	s_clause 0x1
	global_load_b128 v[148:151], v96, s[10:11] offset:64
	global_load_b128 v[0:3], v96, s[10:11] offset:80
	ds_load_b128 v[86:89], v254 offset:4992
	ds_load_b128 v[90:93], v254 offset:5824
	s_waitcnt vmcnt(1) lgkmcnt(2)
	v_mul_f64 v[80:81], v[84:85], v[150:151]
	s_waitcnt vmcnt(0)
	scratch_store_b128 off, v[0:3], off offset:300 ; 16-byte Folded Spill
	v_fma_f64 v[80:81], v[82:83], v[148:149], -v[80:81]
	v_mul_f64 v[82:83], v[82:83], v[150:151]
	s_delay_alu instid0(VALU_DEP_1) | instskip(SKIP_2) | instid1(VALU_DEP_1)
	v_fma_f64 v[82:83], v[84:85], v[148:149], v[82:83]
	s_waitcnt lgkmcnt(1)
	v_mul_f64 v[84:85], v[88:89], v[2:3]
	v_fma_f64 v[84:85], v[86:87], v[0:1], -v[84:85]
	v_mul_f64 v[86:87], v[86:87], v[2:3]
	s_delay_alu instid0(VALU_DEP_1)
	v_fma_f64 v[86:87], v[88:89], v[0:1], v[86:87]
	s_clause 0x1
	global_load_b128 v[152:155], v96, s[10:11] offset:96
	global_load_b128 v[0:3], v96, s[10:11] offset:112
	ds_load_b128 v[97:100], v254 offset:6656
	ds_load_b128 v[112:115], v254 offset:7488
	s_waitcnt vmcnt(1) lgkmcnt(2)
	v_mul_f64 v[88:89], v[92:93], v[154:155]
	s_waitcnt vmcnt(0) lgkmcnt(1)
	v_mul_f64 v[94:95], v[97:98], v[2:3]
	scratch_store_b128 off, v[0:3], off offset:316 ; 16-byte Folded Spill
	v_fma_f64 v[88:89], v[90:91], v[152:153], -v[88:89]
	v_mul_f64 v[90:91], v[90:91], v[154:155]
	v_fma_f64 v[94:95], v[99:100], v[0:1], v[94:95]
	s_delay_alu instid0(VALU_DEP_3) | instskip(NEXT) | instid1(VALU_DEP_3)
	v_add_f64 v[6:7], v[84:85], v[88:89]
	v_fma_f64 v[90:91], v[92:93], v[152:153], v[90:91]
	v_mul_f64 v[92:93], v[99:100], v[2:3]
	s_delay_alu instid0(VALU_DEP_4) | instskip(NEXT) | instid1(VALU_DEP_3)
	v_add_f64 v[246:247], v[82:83], -v[94:95]
	v_add_f64 v[4:5], v[86:87], -v[90:91]
	s_delay_alu instid0(VALU_DEP_3)
	v_fma_f64 v[92:93], v[97:98], v[0:1], -v[92:93]
	s_clause 0x1
	global_load_b128 v[156:159], v96, s[10:11] offset:128
	global_load_b128 v[0:3], v96, s[10:11] offset:144
	v_mul_f64 v[250:251], v[246:247], s[30:31]
	v_mul_f64 v[32:33], v[246:247], s[26:27]
	v_add_f64 v[12:13], v[86:87], v[90:91]
	v_mul_f64 v[48:49], v[246:247], s[40:41]
	v_mul_f64 v[108:109], v[246:247], s[34:35]
	;; [unrolled: 1-line block ×4, first 2 shown]
	v_add_f64 v[248:249], v[80:81], v[92:93]
	v_add_f64 v[252:253], v[80:81], -v[92:93]
	v_mul_f64 v[36:37], v[4:5], s[20:21]
	v_mul_f64 v[216:217], v[4:5], s[38:39]
	;; [unrolled: 1-line block ×5, first 2 shown]
	v_fma_f64 v[10:11], v[6:7], s[28:29], -v[8:9]
	v_fma_f64 v[34:35], v[248:249], s[16:17], -v[32:33]
	;; [unrolled: 1-line block ×8, first 2 shown]
	v_fma_f64 v[8:9], v[6:7], s[28:29], v[8:9]
	s_waitcnt vmcnt(1) lgkmcnt(0)
	v_mul_f64 v[96:97], v[114:115], v[158:159]
	s_waitcnt vmcnt(0)
	v_mul_f64 v[100:101], v[104:105], v[2:3]
	v_mul_f64 v[98:99], v[112:113], v[158:159]
	scratch_store_b128 off, v[0:3], off offset:348 ; 16-byte Folded Spill
	v_fma_f64 v[96:97], v[112:113], v[156:157], -v[96:97]
	v_fma_f64 v[100:101], v[102:103], v[0:1], -v[100:101]
	v_mul_f64 v[102:103], v[102:103], v[2:3]
	v_fma_f64 v[98:99], v[114:115], v[156:157], v[98:99]
	v_mul_f64 v[2:3], v[252:253], s[30:31]
	v_add_f64 v[240:241], v[76:77], -v[96:97]
	v_add_f64 v[232:233], v[68:69], -v[100:101]
	v_fma_f64 v[102:103], v[104:105], v[0:1], v[102:103]
	v_add_f64 v[104:105], v[120:121], -v[56:57]
	v_add_f64 v[0:1], v[201:202], v[106:107]
	v_add_f64 v[236:237], v[78:79], -v[98:99]
	v_add_f64 v[242:243], v[78:79], v[98:99]
	v_mul_f64 v[244:245], v[240:241], s[36:37]
	v_mul_f64 v[234:235], v[232:233], s[18:19]
	;; [unrolled: 1-line block ×11, first 2 shown]
	scratch_store_b64 off, v[0:1], off offset:376 ; 8-byte Folded Spill
	v_add_f64 v[0:1], v[82:83], v[94:95]
	v_mul_f64 v[44:45], v[236:237], s[24:25]
	v_mul_f64 v[172:173], v[236:237], s[40:41]
	;; [unrolled: 1-line block ×4, first 2 shown]
	v_fma_f64 v[162:163], v[160:161], s[28:29], -v[112:113]
	v_fma_f64 v[112:113], v[160:161], s[28:29], v[112:113]
	v_fma_f64 v[164:165], v[160:161], s[16:17], -v[114:115]
	v_fma_f64 v[166:167], v[160:161], s[16:17], v[114:115]
	v_fma_f64 v[168:169], v[160:161], s[14:15], -v[122:123]
	v_fma_f64 v[170:171], v[160:161], s[14:15], v[122:123]
	v_fma_f64 v[174:175], v[160:161], s[12:13], -v[124:125]
	v_fma_f64 v[176:177], v[160:161], s[12:13], v[124:125]
	v_fma_f64 v[178:179], v[160:161], s[8:9], -v[126:127]
	v_fma_f64 v[180:181], v[160:161], s[8:9], v[126:127]
	v_fma_f64 v[182:183], v[160:161], s[2:3], -v[104:105]
	v_fma_f64 v[160:161], v[160:161], s[2:3], v[104:105]
	v_add_f64 v[104:105], v[106:107], -v[58:59]
	v_add_f64 v[106:107], v[203:204], v[120:121]
	v_add_f64 v[120:121], v[66:67], v[62:63]
	v_fma_f64 v[74:75], v[242:243], s[2:3], v[72:73]
	v_fma_f64 v[72:73], v[242:243], s[2:3], -v[72:73]
	v_add_f64 v[112:113], v[201:202], v[112:113]
	v_add_f64 v[222:223], v[201:202], v[164:165]
	;; [unrolled: 1-line block ×4, first 2 shown]
	v_mul_f64 v[114:115], v[104:105], s[44:45]
	v_mul_f64 v[122:123], v[104:105], s[26:27]
	;; [unrolled: 1-line block ×6, first 2 shown]
	v_fma_f64 v[188:189], v[186:187], s[28:29], v[114:115]
	v_fma_f64 v[114:115], v[186:187], s[28:29], -v[114:115]
	v_fma_f64 v[190:191], v[186:187], s[16:17], v[122:123]
	v_fma_f64 v[193:194], v[186:187], s[16:17], -v[122:123]
	;; [unrolled: 2-line block ×6, first 2 shown]
	v_add_f64 v[186:187], v[201:202], v[182:183]
	v_add_f64 v[182:183], v[201:202], v[160:161]
	v_add_f64 v[160:161], v[64:65], -v[60:61]
	v_add_f64 v[124:125], v[201:202], v[162:163]
	v_add_f64 v[162:163], v[201:202], v[166:167]
	;; [unrolled: 1-line block ×11, first 2 shown]
	v_add_f64 v[205:206], v[66:67], -v[62:63]
	v_add_f64 v[170:171], v[203:204], v[209:210]
	v_add_f64 v[126:127], v[203:204], v[193:194]
	;; [unrolled: 1-line block ×4, first 2 shown]
	v_mul_f64 v[164:165], v[160:161], s[22:23]
	v_add_f64 v[176:177], v[203:204], v[184:185]
	v_add_f64 v[184:185], v[203:204], v[218:219]
	;; [unrolled: 1-line block ×3, first 2 shown]
	v_add_f64 v[207:208], v[70:71], -v[102:103]
	v_mul_f64 v[16:17], v[160:161], s[18:19]
	v_mul_f64 v[226:227], v[205:206], s[22:23]
	;; [unrolled: 1-line block ×5, first 2 shown]
	v_fma_f64 v[201:202], v[120:121], s[12:13], -v[164:165]
	v_mul_f64 v[230:231], v[207:208], s[18:19]
	v_fma_f64 v[18:19], v[120:121], s[2:3], -v[16:17]
	v_mul_f64 v[24:25], v[207:208], s[42:43]
	v_mul_f64 v[52:53], v[207:208], s[26:27]
	;; [unrolled: 1-line block ×3, first 2 shown]
	v_fma_f64 v[16:17], v[120:121], s[2:3], v[16:17]
	v_add_f64 v[209:210], v[201:202], v[222:223]
	v_add_f64 v[201:202], v[64:65], v[60:61]
	;; [unrolled: 1-line block ×3, first 2 shown]
	s_delay_alu instid0(VALU_DEP_4) | instskip(NEXT) | instid1(VALU_DEP_3)
	v_add_f64 v[16:17], v[16:17], v[168:169]
	v_fma_f64 v[203:204], v[201:202], s[12:13], v[226:227]
	v_fma_f64 v[22:23], v[201:202], s[2:3], v[20:21]
	;; [unrolled: 1-line block ×3, first 2 shown]
	v_fma_f64 v[128:129], v[201:202], s[28:29], -v[128:129]
	v_fma_f64 v[20:21], v[201:202], s[2:3], -v[20:21]
	v_add_f64 v[211:212], v[203:204], v[224:225]
	v_add_f64 v[203:204], v[68:69], v[100:101]
	v_add_f64 v[22:23], v[22:23], v[197:198]
	v_mul_f64 v[224:225], v[207:208], s[34:35]
	v_add_f64 v[130:131], v[130:131], v[184:185]
	v_add_f64 v[128:129], v[128:129], v[180:181]
	;; [unrolled: 1-line block ×3, first 2 shown]
	v_fma_f64 v[218:219], v[203:204], s[2:3], -v[230:231]
	v_fma_f64 v[26:27], v[203:204], s[12:13], -v[24:25]
	;; [unrolled: 1-line block ×4, first 2 shown]
	v_fma_f64 v[52:53], v[203:204], s[16:17], v[52:53]
	v_add_f64 v[218:219], v[218:219], v[209:210]
	v_add_f64 v[209:210], v[70:71], v[102:103]
	v_add_f64 v[18:19], v[26:27], v[18:19]
	v_mul_f64 v[26:27], v[232:233], s[42:43]
	s_delay_alu instid0(VALU_DEP_3) | instskip(SKIP_1) | instid1(VALU_DEP_3)
	v_fma_f64 v[220:221], v[209:210], s[2:3], v[234:235]
	v_fma_f64 v[42:43], v[209:210], s[28:29], v[40:41]
	;; [unrolled: 1-line block ×3, first 2 shown]
	v_fma_f64 v[40:41], v[209:210], s[28:29], -v[40:41]
	s_delay_alu instid0(VALU_DEP_4) | instskip(SKIP_1) | instid1(VALU_DEP_4)
	v_add_f64 v[220:221], v[220:221], v[211:212]
	v_add_f64 v[211:212], v[76:77], v[96:97]
	;; [unrolled: 1-line block ×3, first 2 shown]
	s_delay_alu instid0(VALU_DEP_2) | instskip(SKIP_3) | instid1(VALU_DEP_4)
	v_fma_f64 v[222:223], v[211:212], s[8:9], -v[238:239]
	v_fma_f64 v[30:31], v[211:212], s[28:29], -v[28:29]
	;; [unrolled: 1-line block ×4, first 2 shown]
	v_add_f64 v[218:219], v[222:223], v[218:219]
	v_fma_f64 v[222:223], v[242:243], s[8:9], v[244:245]
	v_add_f64 v[18:19], v[30:31], v[18:19]
	v_mul_f64 v[30:31], v[240:241], s[34:35]
	s_delay_alu instid0(VALU_DEP_3) | instskip(SKIP_1) | instid1(VALU_DEP_3)
	v_add_f64 v[220:221], v[222:223], v[220:221]
	v_fma_f64 v[222:223], v[248:249], s[14:15], -v[250:251]
	v_fma_f64 v[197:198], v[242:243], s[28:29], v[30:31]
	v_add_f64 v[18:19], v[34:35], v[18:19]
	v_mul_f64 v[34:35], v[252:253], s[26:27]
	s_delay_alu instid0(VALU_DEP_4) | instskip(NEXT) | instid1(VALU_DEP_4)
	v_add_f64 v[218:219], v[222:223], v[218:219]
	v_add_f64 v[22:23], v[197:198], v[22:23]
	v_fma_f64 v[222:223], v[0:1], s[14:15], v[2:3]
	s_delay_alu instid0(VALU_DEP_4)
	v_fma_f64 v[197:198], v[0:1], s[16:17], v[34:35]
	v_fma_f64 v[2:3], v[0:1], s[14:15], -v[2:3]
	v_add_f64 v[218:219], v[10:11], v[218:219]
	v_add_f64 v[10:11], v[84:85], -v[88:89]
	v_add_f64 v[220:221], v[222:223], v[220:221]
	v_add_f64 v[22:23], v[197:198], v[22:23]
	v_add_f64 v[197:198], v[38:39], v[18:19]
	s_delay_alu instid0(VALU_DEP_4) | instskip(SKIP_1) | instid1(VALU_DEP_2)
	v_mul_f64 v[18:19], v[10:11], s[20:21]
	v_mul_f64 v[14:15], v[10:11], s[34:35]
	v_fma_f64 v[38:39], v[12:13], s[8:9], v[18:19]
	s_delay_alu instid0(VALU_DEP_2) | instskip(SKIP_2) | instid1(VALU_DEP_4)
	v_fma_f64 v[222:223], v[12:13], s[28:29], v[14:15]
	v_fma_f64 v[18:19], v[12:13], s[8:9], -v[18:19]
	v_fma_f64 v[14:15], v[12:13], s[28:29], -v[14:15]
	v_add_f64 v[199:200], v[38:39], v[22:23]
	v_mul_f64 v[22:23], v[160:161], s[36:37]
	v_add_f64 v[220:221], v[222:223], v[220:221]
	v_mul_f64 v[222:223], v[205:206], s[36:37]
	s_delay_alu instid0(VALU_DEP_3) | instskip(SKIP_1) | instid1(VALU_DEP_2)
	v_fma_f64 v[38:39], v[120:121], s[8:9], -v[22:23]
	v_fma_f64 v[22:23], v[120:121], s[8:9], v[22:23]
	v_add_f64 v[38:39], v[38:39], v[195:196]
	s_delay_alu instid0(VALU_DEP_4) | instskip(NEXT) | instid1(VALU_DEP_3)
	v_fma_f64 v[195:196], v[201:202], s[8:9], v[222:223]
	v_add_f64 v[22:23], v[22:23], v[174:175]
	s_delay_alu instid0(VALU_DEP_2) | instskip(SKIP_1) | instid1(VALU_DEP_2)
	v_add_f64 v[193:194], v[195:196], v[193:194]
	v_fma_f64 v[195:196], v[203:204], s[28:29], -v[224:225]
	v_add_f64 v[42:43], v[42:43], v[193:194]
	s_delay_alu instid0(VALU_DEP_2) | instskip(NEXT) | instid1(VALU_DEP_1)
	v_add_f64 v[38:39], v[195:196], v[38:39]
	v_add_f64 v[38:39], v[46:47], v[38:39]
	v_mul_f64 v[46:47], v[240:241], s[24:25]
	s_delay_alu instid0(VALU_DEP_2) | instskip(NEXT) | instid1(VALU_DEP_2)
	v_add_f64 v[38:39], v[50:51], v[38:39]
	v_fma_f64 v[193:194], v[242:243], s[14:15], v[46:47]
	v_mul_f64 v[50:51], v[252:253], s[40:41]
	s_delay_alu instid0(VALU_DEP_2) | instskip(NEXT) | instid1(VALU_DEP_2)
	v_add_f64 v[42:43], v[193:194], v[42:43]
	v_fma_f64 v[193:194], v[0:1], s[2:3], v[50:51]
	s_delay_alu instid0(VALU_DEP_1) | instskip(SKIP_1) | instid1(VALU_DEP_1)
	v_add_f64 v[42:43], v[193:194], v[42:43]
	v_fma_f64 v[193:194], v[6:7], s[16:17], -v[216:217]
	v_add_f64 v[193:194], v[193:194], v[38:39]
	v_mul_f64 v[38:39], v[10:11], s[38:39]
	s_delay_alu instid0(VALU_DEP_1) | instskip(SKIP_1) | instid1(VALU_DEP_2)
	v_fma_f64 v[195:196], v[12:13], s[16:17], v[38:39]
	v_fma_f64 v[38:39], v[12:13], s[16:17], -v[38:39]
	v_add_f64 v[195:196], v[195:196], v[42:43]
	v_mul_f64 v[42:43], v[160:161], s[30:31]
	s_delay_alu instid0(VALU_DEP_1) | instskip(SKIP_1) | instid1(VALU_DEP_2)
	v_fma_f64 v[104:105], v[120:121], s[14:15], -v[42:43]
	v_fma_f64 v[42:43], v[120:121], s[14:15], v[42:43]
	v_add_f64 v[104:105], v[104:105], v[190:191]
	v_fma_f64 v[190:191], v[201:202], s[14:15], v[213:214]
	s_delay_alu instid0(VALU_DEP_3) | instskip(NEXT) | instid1(VALU_DEP_3)
	v_add_f64 v[42:43], v[42:43], v[178:179]
	v_add_f64 v[54:55], v[54:55], v[104:105]
	v_mul_f64 v[104:105], v[232:233], s[26:27]
	s_delay_alu instid0(VALU_DEP_4) | instskip(NEXT) | instid1(VALU_DEP_4)
	v_add_f64 v[188:189], v[190:191], v[188:189]
	v_add_f64 v[42:43], v[52:53], v[42:43]
	s_delay_alu instid0(VALU_DEP_3) | instskip(SKIP_1) | instid1(VALU_DEP_2)
	v_fma_f64 v[190:191], v[209:210], s[16:17], v[104:105]
	v_fma_f64 v[52:53], v[209:210], s[16:17], -v[104:105]
	v_add_f64 v[188:189], v[190:191], v[188:189]
	v_fma_f64 v[190:191], v[211:212], s[2:3], -v[172:173]
	s_delay_alu instid0(VALU_DEP_2) | instskip(NEXT) | instid1(VALU_DEP_2)
	v_add_f64 v[74:75], v[74:75], v[188:189]
	v_add_f64 v[54:55], v[190:191], v[54:55]
	s_delay_alu instid0(VALU_DEP_1) | instskip(SKIP_1) | instid1(VALU_DEP_1)
	v_add_f64 v[54:55], v[110:111], v[54:55]
	v_mul_f64 v[110:111], v[252:253], s[34:35]
	v_fma_f64 v[188:189], v[0:1], s[28:29], v[110:111]
	s_delay_alu instid0(VALU_DEP_1) | instskip(NEXT) | instid1(VALU_DEP_4)
	v_add_f64 v[74:75], v[188:189], v[74:75]
	v_add_f64 v[188:189], v[118:119], v[54:55]
	v_mul_f64 v[54:55], v[10:11], s[22:23]
	s_delay_alu instid0(VALU_DEP_1) | instskip(SKIP_1) | instid1(VALU_DEP_2)
	v_fma_f64 v[118:119], v[12:13], s[12:13], v[54:55]
	v_fma_f64 v[54:55], v[12:13], s[12:13], -v[54:55]
	v_add_f64 v[190:191], v[118:119], v[74:75]
	v_mul_f64 v[74:75], v[160:161], s[34:35]
	s_delay_alu instid0(VALU_DEP_1) | instskip(SKIP_1) | instid1(VALU_DEP_2)
	v_fma_f64 v[118:119], v[120:121], s[28:29], -v[74:75]
	v_fma_f64 v[74:75], v[120:121], s[28:29], v[74:75]
	v_add_f64 v[118:119], v[118:119], v[186:187]
	s_delay_alu instid0(VALU_DEP_2) | instskip(NEXT) | instid1(VALU_DEP_2)
	v_add_f64 v[74:75], v[74:75], v[182:183]
	v_add_f64 v[118:119], v[134:135], v[118:119]
	v_mul_f64 v[134:135], v[232:233], s[20:21]
	s_delay_alu instid0(VALU_DEP_2) | instskip(NEXT) | instid1(VALU_DEP_2)
	v_add_f64 v[118:119], v[138:139], v[118:119]
	v_fma_f64 v[184:185], v[209:210], s[8:9], v[134:135]
	v_mul_f64 v[138:139], v[240:241], s[38:39]
	s_delay_alu instid0(VALU_DEP_3) | instskip(NEXT) | instid1(VALU_DEP_3)
	v_add_f64 v[118:119], v[142:143], v[118:119]
	v_add_f64 v[130:131], v[184:185], v[130:131]
	s_delay_alu instid0(VALU_DEP_3) | instskip(SKIP_1) | instid1(VALU_DEP_2)
	v_fma_f64 v[184:185], v[242:243], s[16:17], v[138:139]
	v_mul_f64 v[142:143], v[252:253], s[22:23]
	v_add_f64 v[130:131], v[184:185], v[130:131]
	s_delay_alu instid0(VALU_DEP_2) | instskip(NEXT) | instid1(VALU_DEP_1)
	v_fma_f64 v[184:185], v[0:1], s[12:13], v[142:143]
	v_add_f64 v[130:131], v[184:185], v[130:131]
	v_add_f64 v[184:185], v[146:147], v[118:119]
	v_mul_f64 v[118:119], v[10:11], s[30:31]
	v_mul_f64 v[10:11], v[10:11], s[18:19]
	s_delay_alu instid0(VALU_DEP_2) | instskip(SKIP_1) | instid1(VALU_DEP_2)
	v_fma_f64 v[146:147], v[12:13], s[14:15], v[118:119]
	v_fma_f64 v[118:119], v[12:13], s[14:15], -v[118:119]
	v_add_f64 v[186:187], v[146:147], v[130:131]
	v_fma_f64 v[130:131], v[203:204], s[8:9], v[132:133]
	s_delay_alu instid0(VALU_DEP_1) | instskip(SKIP_1) | instid1(VALU_DEP_1)
	v_add_f64 v[74:75], v[130:131], v[74:75]
	v_fma_f64 v[130:131], v[209:210], s[8:9], -v[134:135]
	v_add_f64 v[128:129], v[130:131], v[128:129]
	v_fma_f64 v[130:131], v[211:212], s[16:17], v[136:137]
	s_delay_alu instid0(VALU_DEP_1) | instskip(SKIP_1) | instid1(VALU_DEP_1)
	v_add_f64 v[74:75], v[130:131], v[74:75]
	;; [unrolled: 5-line block ×3, first 2 shown]
	v_fma_f64 v[130:131], v[0:1], s[12:13], -v[142:143]
	v_add_f64 v[128:129], v[130:131], v[128:129]
	v_fma_f64 v[130:131], v[6:7], s[14:15], v[144:145]
	s_delay_alu instid0(VALU_DEP_2) | instskip(NEXT) | instid1(VALU_DEP_2)
	v_add_f64 v[182:183], v[118:119], v[128:129]
	v_add_f64 v[180:181], v[130:131], v[74:75]
	v_fma_f64 v[74:75], v[201:202], s[14:15], -v[213:214]
	s_delay_alu instid0(VALU_DEP_1) | instskip(NEXT) | instid1(VALU_DEP_1)
	v_add_f64 v[74:75], v[74:75], v[176:177]
	v_add_f64 v[52:53], v[52:53], v[74:75]
	v_fma_f64 v[74:75], v[211:212], s[2:3], v[172:173]
	s_delay_alu instid0(VALU_DEP_2) | instskip(NEXT) | instid1(VALU_DEP_2)
	v_add_f64 v[52:53], v[72:73], v[52:53]
	v_add_f64 v[42:43], v[74:75], v[42:43]
	v_fma_f64 v[72:73], v[248:249], s[28:29], v[108:109]
	s_delay_alu instid0(VALU_DEP_1) | instskip(SKIP_1) | instid1(VALU_DEP_1)
	v_add_f64 v[42:43], v[72:73], v[42:43]
	v_fma_f64 v[72:73], v[0:1], s[28:29], -v[110:111]
	v_add_f64 v[52:53], v[72:73], v[52:53]
	v_fma_f64 v[72:73], v[6:7], s[12:13], v[116:117]
	s_delay_alu instid0(VALU_DEP_2) | instskip(NEXT) | instid1(VALU_DEP_2)
	v_add_f64 v[178:179], v[54:55], v[52:53]
	v_add_f64 v[176:177], v[72:73], v[42:43]
	v_fma_f64 v[42:43], v[201:202], s[8:9], -v[222:223]
	v_fma_f64 v[52:53], v[203:204], s[28:29], v[224:225]
	s_delay_alu instid0(VALU_DEP_2) | instskip(NEXT) | instid1(VALU_DEP_2)
	v_add_f64 v[42:43], v[42:43], v[170:171]
	v_add_f64 v[22:23], v[52:53], v[22:23]
	s_delay_alu instid0(VALU_DEP_2) | instskip(SKIP_1) | instid1(VALU_DEP_1)
	v_add_f64 v[40:41], v[40:41], v[42:43]
	v_fma_f64 v[42:43], v[211:212], s[14:15], v[44:45]
	v_add_f64 v[22:23], v[42:43], v[22:23]
	v_fma_f64 v[42:43], v[242:243], s[14:15], -v[46:47]
	s_delay_alu instid0(VALU_DEP_1) | instskip(SKIP_1) | instid1(VALU_DEP_1)
	v_add_f64 v[40:41], v[42:43], v[40:41]
	v_fma_f64 v[42:43], v[248:249], s[2:3], v[48:49]
	v_add_f64 v[22:23], v[42:43], v[22:23]
	v_fma_f64 v[42:43], v[0:1], s[2:3], -v[50:51]
	s_delay_alu instid0(VALU_DEP_1) | instskip(SKIP_1) | instid1(VALU_DEP_2)
	v_add_f64 v[40:41], v[42:43], v[40:41]
	v_fma_f64 v[42:43], v[6:7], s[16:17], v[216:217]
	v_add_f64 v[224:225], v[38:39], v[40:41]
	s_delay_alu instid0(VALU_DEP_2) | instskip(SKIP_1) | instid1(VALU_DEP_1)
	v_add_f64 v[222:223], v[42:43], v[22:23]
	v_fma_f64 v[22:23], v[203:204], s[12:13], v[24:25]
	v_add_f64 v[16:17], v[22:23], v[16:17]
	v_fma_f64 v[22:23], v[209:210], s[12:13], -v[26:27]
	s_delay_alu instid0(VALU_DEP_1) | instskip(SKIP_1) | instid1(VALU_DEP_1)
	v_add_f64 v[20:21], v[22:23], v[20:21]
	v_fma_f64 v[22:23], v[211:212], s[28:29], v[28:29]
	v_add_f64 v[16:17], v[22:23], v[16:17]
	v_fma_f64 v[22:23], v[242:243], s[28:29], -v[30:31]
	s_delay_alu instid0(VALU_DEP_1) | instskip(SKIP_1) | instid1(VALU_DEP_1)
	v_add_f64 v[20:21], v[22:23], v[20:21]
	v_fma_f64 v[22:23], v[248:249], s[16:17], v[32:33]
	v_add_f64 v[16:17], v[22:23], v[16:17]
	v_fma_f64 v[22:23], v[0:1], s[16:17], -v[34:35]
	s_delay_alu instid0(VALU_DEP_1) | instskip(SKIP_1) | instid1(VALU_DEP_2)
	v_add_f64 v[20:21], v[22:23], v[20:21]
	v_fma_f64 v[22:23], v[6:7], s[8:9], v[36:37]
	v_add_f64 v[168:169], v[18:19], v[20:21]
	s_delay_alu instid0(VALU_DEP_2) | instskip(SKIP_3) | instid1(VALU_DEP_3)
	v_add_f64 v[166:167], v[22:23], v[16:17]
	v_fma_f64 v[16:17], v[120:121], s[12:13], v[164:165]
	v_fma_f64 v[18:19], v[201:202], s[12:13], -v[226:227]
	v_fma_f64 v[20:21], v[203:204], s[2:3], v[230:231]
	v_add_f64 v[16:17], v[16:17], v[162:163]
	s_delay_alu instid0(VALU_DEP_3) | instskip(NEXT) | instid1(VALU_DEP_2)
	v_add_f64 v[18:19], v[18:19], v[126:127]
	v_add_f64 v[16:17], v[20:21], v[16:17]
	v_fma_f64 v[20:21], v[209:210], s[2:3], -v[234:235]
	s_delay_alu instid0(VALU_DEP_1) | instskip(SKIP_1) | instid1(VALU_DEP_1)
	v_add_f64 v[18:19], v[20:21], v[18:19]
	v_fma_f64 v[20:21], v[211:212], s[8:9], v[238:239]
	v_add_f64 v[16:17], v[20:21], v[16:17]
	v_fma_f64 v[20:21], v[242:243], s[8:9], -v[244:245]
	s_delay_alu instid0(VALU_DEP_1) | instskip(SKIP_1) | instid1(VALU_DEP_2)
	v_add_f64 v[18:19], v[20:21], v[18:19]
	v_fma_f64 v[20:21], v[248:249], s[14:15], v[250:251]
	v_add_f64 v[2:3], v[2:3], v[18:19]
	s_delay_alu instid0(VALU_DEP_2) | instskip(SKIP_1) | instid1(VALU_DEP_3)
	v_add_f64 v[16:17], v[20:21], v[16:17]
	v_mul_f64 v[18:19], v[207:208], s[24:25]
	v_add_f64 v[164:165], v[14:15], v[2:3]
	v_mul_f64 v[2:3], v[160:161], s[26:27]
	s_delay_alu instid0(VALU_DEP_4) | instskip(SKIP_2) | instid1(VALU_DEP_4)
	v_add_f64 v[162:163], v[8:9], v[16:17]
	v_mul_f64 v[14:15], v[205:206], s[26:27]
	v_fma_f64 v[20:21], v[203:204], s[14:15], -v[18:19]
	v_fma_f64 v[8:9], v[120:121], s[16:17], -v[2:3]
	v_fma_f64 v[2:3], v[120:121], s[16:17], v[2:3]
	s_delay_alu instid0(VALU_DEP_4) | instskip(NEXT) | instid1(VALU_DEP_3)
	v_fma_f64 v[16:17], v[201:202], s[16:17], v[14:15]
	v_add_f64 v[8:9], v[8:9], v[124:125]
	s_delay_alu instid0(VALU_DEP_3) | instskip(NEXT) | instid1(VALU_DEP_3)
	v_add_f64 v[2:3], v[2:3], v[112:113]
	v_add_f64 v[16:17], v[16:17], v[122:123]
	s_delay_alu instid0(VALU_DEP_3) | instskip(SKIP_1) | instid1(VALU_DEP_1)
	v_add_f64 v[8:9], v[20:21], v[8:9]
	v_mul_f64 v[20:21], v[232:233], s[24:25]
	v_fma_f64 v[22:23], v[209:210], s[14:15], v[20:21]
	s_delay_alu instid0(VALU_DEP_1) | instskip(SKIP_1) | instid1(VALU_DEP_1)
	v_add_f64 v[16:17], v[22:23], v[16:17]
	v_mul_f64 v[22:23], v[236:237], s[22:23]
	v_fma_f64 v[24:25], v[211:212], s[12:13], -v[22:23]
	s_delay_alu instid0(VALU_DEP_1) | instskip(SKIP_1) | instid1(VALU_DEP_1)
	v_add_f64 v[8:9], v[24:25], v[8:9]
	v_mul_f64 v[24:25], v[240:241], s[22:23]
	v_fma_f64 v[26:27], v[242:243], s[12:13], v[24:25]
	s_delay_alu instid0(VALU_DEP_1) | instskip(SKIP_1) | instid1(VALU_DEP_1)
	v_add_f64 v[16:17], v[26:27], v[16:17]
	v_mul_f64 v[26:27], v[246:247], s[20:21]
	v_fma_f64 v[28:29], v[248:249], s[8:9], -v[26:27]
	s_delay_alu instid0(VALU_DEP_1) | instskip(SKIP_1) | instid1(VALU_DEP_1)
	v_add_f64 v[8:9], v[28:29], v[8:9]
	v_mul_f64 v[28:29], v[252:253], s[20:21]
	v_fma_f64 v[30:31], v[0:1], s[8:9], v[28:29]
	v_fma_f64 v[0:1], v[0:1], s[8:9], -v[28:29]
	s_delay_alu instid0(VALU_DEP_2) | instskip(SKIP_3) | instid1(VALU_DEP_3)
	v_add_f64 v[16:17], v[30:31], v[16:17]
	v_fma_f64 v[30:31], v[6:7], s[2:3], -v[4:5]
	v_fma_f64 v[4:5], v[6:7], s[2:3], v[4:5]
	v_fma_f64 v[6:7], v[12:13], s[2:3], -v[10:11]
	v_add_f64 v[122:123], v[30:31], v[8:9]
	v_fma_f64 v[8:9], v[12:13], s[2:3], v[10:11]
	s_load_b64 s[2:3], s[0:1], 0x38
	s_delay_alu instid0(VALU_DEP_1)
	v_add_f64 v[124:125], v[8:9], v[16:17]
	scratch_load_b64 v[8:9], off, off offset:376 ; 8-byte Folded Reload
	v_add_f64 v[16:17], v[106:107], v[64:65]
	s_waitcnt vmcnt(0) lgkmcnt(0)
	s_waitcnt_vscnt null, 0x0
	s_barrier
	buffer_gl0_inv
	v_add_f64 v[16:17], v[16:17], v[70:71]
	s_delay_alu instid0(VALU_DEP_1) | instskip(NEXT) | instid1(VALU_DEP_1)
	v_add_f64 v[16:17], v[16:17], v[78:79]
	v_add_f64 v[16:17], v[16:17], v[82:83]
	s_delay_alu instid0(VALU_DEP_1) | instskip(NEXT) | instid1(VALU_DEP_1)
	v_add_f64 v[16:17], v[16:17], v[86:87]
	;; [unrolled: 3-line block ×3, first 2 shown]
	v_add_f64 v[16:17], v[16:17], v[98:99]
	s_delay_alu instid0(VALU_DEP_1) | instskip(SKIP_1) | instid1(VALU_DEP_2)
	v_add_f64 v[16:17], v[16:17], v[102:103]
	v_add_f64 v[8:9], v[8:9], v[66:67]
	;; [unrolled: 1-line block ×3, first 2 shown]
	s_delay_alu instid0(VALU_DEP_2) | instskip(NEXT) | instid1(VALU_DEP_2)
	v_add_f64 v[8:9], v[8:9], v[68:69]
                                        ; implicit-def: $vgpr68_vgpr69
	v_add_f64 v[60:61], v[16:17], v[56:57]
	v_fma_f64 v[16:17], v[209:210], s[14:15], -v[20:21]
	v_fma_f64 v[20:21], v[242:243], s[12:13], -v[24:25]
	s_delay_alu instid0(VALU_DEP_4) | instskip(NEXT) | instid1(VALU_DEP_1)
	v_add_f64 v[8:9], v[8:9], v[76:77]
	v_add_f64 v[8:9], v[8:9], v[80:81]
	s_delay_alu instid0(VALU_DEP_1) | instskip(NEXT) | instid1(VALU_DEP_1)
	v_add_f64 v[8:9], v[8:9], v[84:85]
	v_add_f64 v[8:9], v[8:9], v[88:89]
	s_delay_alu instid0(VALU_DEP_1) | instskip(NEXT) | instid1(VALU_DEP_1)
	;; [unrolled: 3-line block ×3, first 2 shown]
	v_add_f64 v[8:9], v[8:9], v[100:101]
	v_add_f64 v[8:9], v[8:9], v[62:63]
	s_delay_alu instid0(VALU_DEP_1) | instskip(SKIP_3) | instid1(VALU_DEP_3)
	v_add_f64 v[58:59], v[8:9], v[58:59]
	v_fma_f64 v[8:9], v[201:202], s[16:17], -v[14:15]
	v_fma_f64 v[14:15], v[203:204], s[14:15], v[18:19]
	v_fma_f64 v[18:19], v[211:212], s[12:13], v[22:23]
	v_add_f64 v[8:9], v[8:9], v[114:115]
	s_delay_alu instid0(VALU_DEP_3) | instskip(SKIP_1) | instid1(VALU_DEP_3)
	v_add_f64 v[2:3], v[14:15], v[2:3]
	v_fma_f64 v[14:15], v[248:249], s[8:9], v[26:27]
	v_add_f64 v[8:9], v[16:17], v[8:9]
	s_delay_alu instid0(VALU_DEP_3) | instskip(NEXT) | instid1(VALU_DEP_2)
	v_add_f64 v[2:3], v[18:19], v[2:3]
	v_add_f64 v[8:9], v[20:21], v[8:9]
	s_delay_alu instid0(VALU_DEP_2) | instskip(NEXT) | instid1(VALU_DEP_2)
	v_add_f64 v[2:3], v[14:15], v[2:3]
	v_add_f64 v[0:1], v[0:1], v[8:9]
	s_delay_alu instid0(VALU_DEP_2) | instskip(NEXT) | instid1(VALU_DEP_2)
	v_add_f64 v[112:113], v[4:5], v[2:3]
	v_add_f64 v[114:115], v[6:7], v[0:1]
	v_and_b32_e32 v0, 0xffff, v228
	s_delay_alu instid0(VALU_DEP_1) | instskip(NEXT) | instid1(VALU_DEP_1)
	v_mul_u32_u24_e32 v0, 0xa9, v0
	v_add_lshl_u32 v255, v0, v255, 4
	ds_store_b128 v255, v[218:221] offset:416
	ds_store_b128 v255, v[197:200] offset:624
	;; [unrolled: 1-line block ×11, first 2 shown]
	ds_store_b128 v255, v[58:61]
                                        ; implicit-def: $vgpr164_vgpr165
                                        ; implicit-def: $vgpr168_vgpr169
	ds_store_b128 v255, v[112:115] offset:2496
	s_waitcnt lgkmcnt(0)
	s_barrier
	buffer_gl0_inv
	ds_load_b128 v[120:123], v254
	ds_load_b128 v[160:163], v254 offset:832
	ds_load_b128 v[80:83], v254 offset:5408
	;; [unrolled: 1-line block ×11, first 2 shown]
	s_and_saveexec_b32 s0, vcc_lo
	s_cbranch_execz .LBB0_3
; %bb.2:
	ds_load_b128 v[112:115], v254 offset:2496
	ds_load_b128 v[68:71], v254 offset:5200
	ds_load_b128 v[168:171], v254 offset:7904
	ds_load_b128 v[164:167], v254 offset:10608
.LBB0_3:
	s_or_b32 exec_lo, exec_lo, s0
	scratch_load_b32 v35, off, off          ; 4-byte Folded Reload
	s_waitcnt vmcnt(0)
	v_mad_u64_u32 v[0:1], null, v35, 48, s[10:11]
	v_add_nc_u32_e32 v34, 0x9c, v35
	v_add_nc_u32_e32 v35, -13, v35
	s_clause 0x1
	global_load_b128 v[56:59], v[0:1], off offset:2496
	global_load_b128 v[76:79], v[0:1], off offset:2512
	v_add_co_u32 v10, s0, 0x9c0, v0
	s_delay_alu instid0(VALU_DEP_1) | instskip(SKIP_1) | instid1(VALU_DEP_1)
	v_add_co_ci_u32_e64 v11, s0, 0, v1, s0
	v_cndmask_b32_e32 v34, v35, v34, vcc_lo
	v_mul_i32_i24_e32 v35, 48, v34
	v_mul_hi_i32_i24_e32 v36, 48, v34
	s_waitcnt vmcnt(1) lgkmcnt(7)
	v_mul_f64 v[2:3], v[86:87], v[58:59]
	v_mul_f64 v[4:5], v[84:85], v[58:59]
	s_waitcnt vmcnt(0)
	v_mul_f64 v[6:7], v[82:83], v[78:79]
	v_mul_f64 v[8:9], v[80:81], v[78:79]
	s_delay_alu instid0(VALU_DEP_4) | instskip(NEXT) | instid1(VALU_DEP_4)
	v_fma_f64 v[2:3], v[84:85], v[56:57], -v[2:3]
	v_fma_f64 v[4:5], v[86:87], v[56:57], v[4:5]
	s_delay_alu instid0(VALU_DEP_4) | instskip(NEXT) | instid1(VALU_DEP_4)
	v_fma_f64 v[6:7], v[80:81], v[76:77], -v[6:7]
	v_fma_f64 v[8:9], v[82:83], v[76:77], v[8:9]
	s_clause 0x1
	global_load_b128 v[84:87], v[0:1], off offset:2528
	global_load_b128 v[80:83], v[10:11], off offset:2496
	v_add_f64 v[6:7], v[120:121], -v[6:7]
	v_add_f64 v[8:9], v[122:123], -v[8:9]
	s_waitcnt vmcnt(1) lgkmcnt(3)
	v_mul_f64 v[0:1], v[94:95], v[86:87]
	v_mul_f64 v[12:13], v[92:93], v[86:87]
	s_waitcnt vmcnt(0)
	v_mul_f64 v[14:15], v[90:91], v[82:83]
	v_mul_f64 v[16:17], v[88:89], v[82:83]
	s_delay_alu instid0(VALU_DEP_4) | instskip(NEXT) | instid1(VALU_DEP_4)
	v_fma_f64 v[0:1], v[92:93], v[84:85], -v[0:1]
	v_fma_f64 v[12:13], v[94:95], v[84:85], v[12:13]
	s_delay_alu instid0(VALU_DEP_4) | instskip(NEXT) | instid1(VALU_DEP_4)
	v_fma_f64 v[14:15], v[88:89], v[80:81], -v[14:15]
	v_fma_f64 v[16:17], v[90:91], v[80:81], v[16:17]
	s_clause 0x1
	global_load_b128 v[88:91], v[10:11], off offset:2512
	global_load_b128 v[92:95], v[10:11], off offset:2528
	v_add_co_u32 v10, s0, 0x9c0, v10
	s_delay_alu instid0(VALU_DEP_1) | instskip(SKIP_1) | instid1(VALU_DEP_1)
	v_add_co_ci_u32_e64 v11, s0, 0, v11, s0
	v_add_co_u32 v34, s0, s10, v35
	v_add_co_ci_u32_e64 v35, s0, s11, v36, s0
	v_add_f64 v[0:1], v[2:3], -v[0:1]
	v_add_f64 v[12:13], v[4:5], -v[12:13]
	s_delay_alu instid0(VALU_DEP_2) | instskip(NEXT) | instid1(VALU_DEP_2)
	v_fma_f64 v[2:3], v[2:3], 2.0, -v[0:1]
	v_fma_f64 v[4:5], v[4:5], 2.0, -v[12:13]
	s_waitcnt vmcnt(1)
	v_mul_f64 v[18:19], v[98:99], v[90:91]
	v_mul_f64 v[20:21], v[96:97], v[90:91]
	s_waitcnt vmcnt(0) lgkmcnt(1)
	v_mul_f64 v[22:23], v[102:103], v[94:95]
	v_mul_f64 v[24:25], v[100:101], v[94:95]
	s_delay_alu instid0(VALU_DEP_4) | instskip(NEXT) | instid1(VALU_DEP_4)
	v_fma_f64 v[18:19], v[96:97], v[88:89], -v[18:19]
	v_fma_f64 v[20:21], v[98:99], v[88:89], v[20:21]
	s_delay_alu instid0(VALU_DEP_4) | instskip(NEXT) | instid1(VALU_DEP_4)
	v_fma_f64 v[22:23], v[100:101], v[92:93], -v[22:23]
	v_fma_f64 v[24:25], v[102:103], v[92:93], v[24:25]
	s_clause 0x1
	global_load_b128 v[96:99], v[10:11], off offset:2496
	global_load_b128 v[100:103], v[10:11], off offset:2512
	v_add_f64 v[18:19], v[160:161], -v[18:19]
	v_add_f64 v[20:21], v[162:163], -v[20:21]
	;; [unrolled: 1-line block ×4, first 2 shown]
	s_delay_alu instid0(VALU_DEP_4) | instskip(NEXT) | instid1(VALU_DEP_4)
	v_fma_f64 v[48:49], v[160:161], 2.0, -v[18:19]
	v_fma_f64 v[50:51], v[162:163], 2.0, -v[20:21]
	s_delay_alu instid0(VALU_DEP_4) | instskip(NEXT) | instid1(VALU_DEP_4)
	v_add_f64 v[162:163], v[20:21], v[22:23]
	v_add_f64 v[160:161], v[18:19], -v[24:25]
	v_fma_f64 v[14:15], v[14:15], 2.0, -v[22:23]
	v_fma_f64 v[16:17], v[16:17], 2.0, -v[24:25]
	s_waitcnt vmcnt(1)
	v_mul_f64 v[26:27], v[106:107], v[98:99]
	v_mul_f64 v[28:29], v[104:105], v[98:99]
	s_waitcnt vmcnt(0)
	v_mul_f64 v[30:31], v[62:63], v[102:103]
	v_mul_f64 v[32:33], v[60:61], v[102:103]
	s_delay_alu instid0(VALU_DEP_4) | instskip(NEXT) | instid1(VALU_DEP_4)
	v_fma_f64 v[26:27], v[104:105], v[96:97], -v[26:27]
	v_fma_f64 v[28:29], v[106:107], v[96:97], v[28:29]
	s_delay_alu instid0(VALU_DEP_4) | instskip(NEXT) | instid1(VALU_DEP_4)
	v_fma_f64 v[30:31], v[60:61], v[100:101], -v[30:31]
	v_fma_f64 v[32:33], v[62:63], v[100:101], v[32:33]
	s_clause 0x1
	global_load_b128 v[104:107], v[10:11], off offset:2528
	global_load_b128 v[60:63], v[34:35], off offset:2496
	s_waitcnt vmcnt(1) lgkmcnt(0)
	v_mul_f64 v[10:11], v[66:67], v[106:107]
	v_mul_f64 v[36:37], v[64:65], v[106:107]
	s_waitcnt vmcnt(0)
	v_mul_f64 v[38:39], v[70:71], v[62:63]
	v_mul_f64 v[40:41], v[68:69], v[62:63]
	s_delay_alu instid0(VALU_DEP_4) | instskip(NEXT) | instid1(VALU_DEP_4)
	v_fma_f64 v[10:11], v[64:65], v[104:105], -v[10:11]
	v_fma_f64 v[36:37], v[66:67], v[104:105], v[36:37]
	s_delay_alu instid0(VALU_DEP_4) | instskip(NEXT) | instid1(VALU_DEP_4)
	v_fma_f64 v[38:39], v[68:69], v[60:61], -v[38:39]
	v_fma_f64 v[40:41], v[70:71], v[60:61], v[40:41]
	s_clause 0x1
	global_load_b128 v[64:67], v[34:35], off offset:2512
	global_load_b128 v[68:71], v[34:35], off offset:2528
	v_add_f64 v[10:11], v[26:27], -v[10:11]
	s_waitcnt vmcnt(1)
	v_mul_f64 v[34:35], v[170:171], v[66:67]
	s_waitcnt vmcnt(0)
	v_mul_f64 v[44:45], v[166:167], v[70:71]
	v_mul_f64 v[46:47], v[164:165], v[70:71]
	;; [unrolled: 1-line block ×3, first 2 shown]
	s_delay_alu instid0(VALU_DEP_4) | instskip(NEXT) | instid1(VALU_DEP_4)
	v_fma_f64 v[34:35], v[168:169], v[64:65], -v[34:35]
	v_fma_f64 v[44:45], v[164:165], v[68:69], -v[44:45]
	s_delay_alu instid0(VALU_DEP_4)
	v_fma_f64 v[46:47], v[166:167], v[68:69], v[46:47]
	v_fma_f64 v[164:165], v[18:19], 2.0, -v[160:161]
	v_fma_f64 v[166:167], v[20:21], 2.0, -v[162:163]
	v_add_f64 v[18:19], v[124:125], -v[30:31]
	v_add_f64 v[20:21], v[126:127], -v[32:33]
	;; [unrolled: 1-line block ×3, first 2 shown]
	v_fma_f64 v[42:43], v[170:171], v[64:65], v[42:43]
	s_delay_alu instid0(VALU_DEP_4) | instskip(NEXT) | instid1(VALU_DEP_4)
	v_fma_f64 v[32:33], v[124:125], 2.0, -v[18:19]
	v_add_f64 v[170:171], v[20:21], v[10:11]
	s_delay_alu instid0(VALU_DEP_4) | instskip(SKIP_1) | instid1(VALU_DEP_3)
	v_add_f64 v[168:169], v[18:19], -v[30:31]
	v_fma_f64 v[36:37], v[126:127], 2.0, -v[20:21]
	v_fma_f64 v[126:127], v[20:21], 2.0, -v[170:171]
	s_delay_alu instid0(VALU_DEP_3)
	v_fma_f64 v[124:125], v[18:19], 2.0, -v[168:169]
	v_fma_f64 v[18:19], v[120:121], 2.0, -v[6:7]
	;; [unrolled: 1-line block ×3, first 2 shown]
	ds_store_b128 v254, v[168:171] offset:9776
	v_add_f64 v[120:121], v[18:19], -v[2:3]
	v_add_f64 v[122:123], v[20:21], -v[4:5]
	ds_store_b128 v254, v[160:163] offset:8944
	v_add_f64 v[160:161], v[48:49], -v[14:15]
	v_add_f64 v[162:163], v[50:51], -v[16:17]
	v_fma_f64 v[2:3], v[26:27], 2.0, -v[10:11]
	v_fma_f64 v[4:5], v[28:29], 2.0, -v[30:31]
	;; [unrolled: 1-line block ×3, first 2 shown]
	ds_store_b128 v254, v[120:123] offset:5408
	ds_store_b128 v254, v[160:163] offset:6240
	;; [unrolled: 1-line block ×4, first 2 shown]
	v_add_f64 v[124:125], v[6:7], -v[12:13]
	v_add_f64 v[126:127], v[8:9], v[0:1]
	v_fma_f64 v[170:171], v[20:21], 2.0, -v[122:123]
	v_fma_f64 v[120:121], v[48:49], 2.0, -v[160:161]
	;; [unrolled: 1-line block ×3, first 2 shown]
	v_add_f64 v[160:161], v[32:33], -v[2:3]
	v_add_f64 v[162:163], v[36:37], -v[4:5]
	;; [unrolled: 1-line block ×5, first 2 shown]
	v_fma_f64 v[164:165], v[6:7], 2.0, -v[124:125]
	v_add_f64 v[6:7], v[40:41], -v[46:47]
	v_fma_f64 v[166:167], v[8:9], 2.0, -v[126:127]
	ds_store_b128 v254, v[124:127] offset:8112
	v_fma_f64 v[124:125], v[32:33], 2.0, -v[160:161]
	v_fma_f64 v[126:127], v[36:37], 2.0, -v[162:163]
	ds_store_b128 v254, v[160:163] offset:7072
	ds_store_b128 v254, v[168:171]
	ds_store_b128 v254, v[120:123] offset:832
	ds_store_b128 v254, v[164:167] offset:2704
	;; [unrolled: 1-line block ×3, first 2 shown]
	v_fma_f64 v[160:161], v[112:113], 2.0, -v[0:1]
	v_fma_f64 v[162:163], v[114:115], 2.0, -v[2:3]
	;; [unrolled: 1-line block ×4, first 2 shown]
	v_add_f64 v[124:125], v[0:1], -v[6:7]
	v_add_f64 v[126:127], v[2:3], v[4:5]
	s_delay_alu instid0(VALU_DEP_4) | instskip(NEXT) | instid1(VALU_DEP_4)
	v_add_f64 v[120:121], v[160:161], -v[8:9]
	v_add_f64 v[122:123], v[162:163], -v[10:11]
	s_delay_alu instid0(VALU_DEP_4) | instskip(NEXT) | instid1(VALU_DEP_4)
	v_fma_f64 v[112:113], v[0:1], 2.0, -v[124:125]
	v_fma_f64 v[114:115], v[2:3], 2.0, -v[126:127]
	s_and_saveexec_b32 s0, vcc_lo
	s_cbranch_execz .LBB0_5
; %bb.4:
	s_delay_alu instid0(VALU_DEP_3)
	v_fma_f64 v[162:163], v[162:163], 2.0, -v[122:123]
	v_fma_f64 v[160:161], v[160:161], 2.0, -v[120:121]
	ds_store_b128 v254, v[160:163] offset:2496
	ds_store_b128 v254, v[112:115] offset:5200
	;; [unrolled: 1-line block ×4, first 2 shown]
.LBB0_5:
	s_or_b32 exec_lo, exec_lo, s0
	s_waitcnt lgkmcnt(0)
	s_barrier
	buffer_gl0_inv
	s_clause 0x1
	scratch_load_b32 v6, off, off offset:364
	scratch_load_b64 v[2:3], off, off offset:368
	v_add_co_u32 v0, s0, 0x2a40, v192
	s_mov_b32 s30, 0x4267c47c
	s_mov_b32 s28, 0x42a4c3d2
	;; [unrolled: 1-line block ×29, first 2 shown]
	s_waitcnt vmcnt(1)
	v_add_co_ci_u32_e64 v1, s0, 0, v6, s0
	s_waitcnt vmcnt(0)
	s_clause 0x1
	global_load_b128 v[162:165], v[2:3], off offset:2624
	global_load_b128 v[166:169], v[0:1], off offset:832
	ds_load_b128 v[170:173], v254
	ds_load_b128 v[174:177], v254 offset:832
	s_waitcnt vmcnt(1) lgkmcnt(1)
	v_mul_f64 v[2:3], v[172:173], v[164:165]
	v_mul_f64 v[4:5], v[170:171], v[164:165]
	s_delay_alu instid0(VALU_DEP_2) | instskip(SKIP_2) | instid1(VALU_DEP_3)
	v_fma_f64 v[160:161], v[170:171], v[162:163], -v[2:3]
	s_waitcnt vmcnt(0) lgkmcnt(0)
	v_mul_f64 v[2:3], v[176:177], v[168:169]
	v_fma_f64 v[162:163], v[172:173], v[162:163], v[4:5]
	v_mul_f64 v[4:5], v[174:175], v[168:169]
	s_delay_alu instid0(VALU_DEP_3)
	v_fma_f64 v[164:165], v[174:175], v[166:167], -v[2:3]
	s_clause 0x1
	global_load_b128 v[168:171], v[0:1], off offset:1664
	global_load_b128 v[172:175], v[0:1], off offset:2496
	v_fma_f64 v[166:167], v[176:177], v[166:167], v[4:5]
	ds_load_b128 v[176:179], v254 offset:1664
	ds_load_b128 v[180:183], v254 offset:2496
	s_waitcnt vmcnt(1) lgkmcnt(1)
	v_mul_f64 v[2:3], v[178:179], v[170:171]
	v_mul_f64 v[4:5], v[176:177], v[170:171]
	s_delay_alu instid0(VALU_DEP_2) | instskip(SKIP_2) | instid1(VALU_DEP_3)
	v_fma_f64 v[176:177], v[176:177], v[168:169], -v[2:3]
	s_waitcnt vmcnt(0) lgkmcnt(0)
	v_mul_f64 v[2:3], v[182:183], v[174:175]
	v_fma_f64 v[178:179], v[178:179], v[168:169], v[4:5]
	v_mul_f64 v[4:5], v[180:181], v[174:175]
	s_delay_alu instid0(VALU_DEP_3) | instskip(SKIP_1) | instid1(VALU_DEP_1)
	v_fma_f64 v[168:169], v[180:181], v[172:173], -v[2:3]
	v_add_co_u32 v2, s0, 0x3000, v192
	v_add_co_ci_u32_e64 v3, s0, 0, v6, s0
	s_delay_alu instid0(VALU_DEP_4)
	v_fma_f64 v[170:171], v[182:183], v[172:173], v[4:5]
	s_clause 0x1
	global_load_b128 v[172:175], v[0:1], off offset:3328
	global_load_b128 v[180:183], v[2:3], off offset:2688
	ds_load_b128 v[184:187], v254 offset:3328
	ds_load_b128 v[188:191], v254 offset:4160
	s_waitcnt vmcnt(1) lgkmcnt(1)
	v_mul_f64 v[0:1], v[186:187], v[174:175]
	v_mul_f64 v[4:5], v[184:185], v[174:175]
	s_delay_alu instid0(VALU_DEP_2) | instskip(SKIP_2) | instid1(VALU_DEP_3)
	v_fma_f64 v[184:185], v[184:185], v[172:173], -v[0:1]
	s_waitcnt vmcnt(0) lgkmcnt(0)
	v_mul_f64 v[0:1], v[190:191], v[182:183]
	v_fma_f64 v[186:187], v[186:187], v[172:173], v[4:5]
	v_mul_f64 v[4:5], v[188:189], v[182:183]
	s_delay_alu instid0(VALU_DEP_3) | instskip(SKIP_1) | instid1(VALU_DEP_1)
	v_fma_f64 v[172:173], v[188:189], v[180:181], -v[0:1]
	v_add_co_u32 v0, s0, 0x4000, v192
	v_add_co_ci_u32_e64 v1, s0, 0, v6, s0
	s_delay_alu instid0(VALU_DEP_4)
	v_fma_f64 v[174:175], v[190:191], v[180:181], v[4:5]
	s_clause 0x1
	global_load_b128 v[180:183], v[2:3], off offset:3520
	global_load_b128 v[188:191], v[0:1], off offset:256
	ds_load_b128 v[193:196], v254 offset:4992
	ds_load_b128 v[197:200], v254 offset:5824
	s_waitcnt vmcnt(1) lgkmcnt(1)
	v_mul_f64 v[2:3], v[195:196], v[182:183]
	v_mul_f64 v[4:5], v[193:194], v[182:183]
	s_delay_alu instid0(VALU_DEP_2) | instskip(NEXT) | instid1(VALU_DEP_2)
	v_fma_f64 v[193:194], v[193:194], v[180:181], -v[2:3]
	v_fma_f64 v[195:196], v[195:196], v[180:181], v[4:5]
	s_waitcnt vmcnt(0) lgkmcnt(0)
	v_mul_f64 v[2:3], v[199:200], v[190:191]
	v_mul_f64 v[4:5], v[197:198], v[190:191]
	s_delay_alu instid0(VALU_DEP_2) | instskip(NEXT) | instid1(VALU_DEP_2)
	v_fma_f64 v[180:181], v[197:198], v[188:189], -v[2:3]
	v_fma_f64 v[182:183], v[199:200], v[188:189], v[4:5]
	s_clause 0x1
	global_load_b128 v[188:191], v[0:1], off offset:1088
	global_load_b128 v[197:200], v[0:1], off offset:1920
	ds_load_b128 v[201:204], v254 offset:6656
	ds_load_b128 v[205:208], v254 offset:7488
	s_waitcnt vmcnt(1) lgkmcnt(1)
	v_mul_f64 v[2:3], v[203:204], v[190:191]
	v_mul_f64 v[4:5], v[201:202], v[190:191]
	s_delay_alu instid0(VALU_DEP_2) | instskip(NEXT) | instid1(VALU_DEP_2)
	v_fma_f64 v[201:202], v[201:202], v[188:189], -v[2:3]
	v_fma_f64 v[203:204], v[203:204], v[188:189], v[4:5]
	s_waitcnt vmcnt(0) lgkmcnt(0)
	v_mul_f64 v[2:3], v[207:208], v[199:200]
	v_mul_f64 v[4:5], v[205:206], v[199:200]
	s_delay_alu instid0(VALU_DEP_2) | instskip(NEXT) | instid1(VALU_DEP_2)
	v_fma_f64 v[188:189], v[205:206], v[197:198], -v[2:3]
	v_fma_f64 v[190:191], v[207:208], v[197:198], v[4:5]
	s_clause 0x1
	global_load_b128 v[197:200], v[0:1], off offset:2752
	global_load_b128 v[205:208], v[0:1], off offset:3584
	ds_load_b128 v[209:212], v254 offset:8320
	ds_load_b128 v[215:218], v254 offset:9152
	s_waitcnt vmcnt(1) lgkmcnt(1)
	v_mul_f64 v[0:1], v[211:212], v[199:200]
	v_mul_f64 v[2:3], v[209:210], v[199:200]
	s_delay_alu instid0(VALU_DEP_2) | instskip(SKIP_2) | instid1(VALU_DEP_3)
	v_fma_f64 v[209:210], v[209:210], v[197:198], -v[0:1]
	s_waitcnt vmcnt(0) lgkmcnt(0)
	v_mul_f64 v[0:1], v[217:218], v[207:208]
	v_fma_f64 v[211:212], v[211:212], v[197:198], v[2:3]
	v_mul_f64 v[2:3], v[215:216], v[207:208]
	s_delay_alu instid0(VALU_DEP_3) | instskip(SKIP_1) | instid1(VALU_DEP_1)
	v_fma_f64 v[197:198], v[215:216], v[205:206], -v[0:1]
	v_add_co_u32 v0, s0, 0x5000, v192
	v_add_co_ci_u32_e64 v1, s0, 0, v6, s0
	s_delay_alu instid0(VALU_DEP_4)
	v_fma_f64 v[199:200], v[217:218], v[205:206], v[2:3]
	ds_load_b128 v[213:216], v254 offset:9984
	s_mov_b32 s0, 0x2ef20147
	global_load_b128 v[205:208], v[0:1], off offset:320
	s_mov_b32 s1, 0xbfedeba7
	s_mov_b32 s34, s0
	s_waitcnt vmcnt(0) lgkmcnt(0)
	v_mul_f64 v[0:1], v[215:216], v[207:208]
	v_mul_f64 v[2:3], v[213:214], v[207:208]
	s_delay_alu instid0(VALU_DEP_2) | instskip(NEXT) | instid1(VALU_DEP_2)
	v_fma_f64 v[213:214], v[213:214], v[205:206], -v[0:1]
	v_fma_f64 v[215:216], v[215:216], v[205:206], v[2:3]
	ds_store_b128 v254, v[160:163]
	ds_store_b128 v254, v[164:167] offset:832
	ds_store_b128 v254, v[176:179] offset:1664
	;; [unrolled: 1-line block ×12, first 2 shown]
	s_waitcnt lgkmcnt(0)
	s_barrier
	buffer_gl0_inv
	ds_load_b128 v[160:163], v254
	ds_load_b128 v[164:167], v254 offset:832
	ds_load_b128 v[168:171], v254 offset:1664
	;; [unrolled: 1-line block ×7, first 2 shown]
	s_waitcnt lgkmcnt(6)
	v_add_f64 v[0:1], v[160:161], v[164:165]
	v_add_f64 v[2:3], v[162:163], v[166:167]
	s_waitcnt lgkmcnt(0)
	v_add_f64 v[193:194], v[184:185], v[188:189]
	v_add_f64 v[195:196], v[186:187], v[190:191]
	v_add_f64 v[197:198], v[186:187], -v[190:191]
	v_add_f64 v[0:1], v[0:1], v[168:169]
	v_add_f64 v[2:3], v[2:3], v[170:171]
	s_delay_alu instid0(VALU_DEP_2) | instskip(NEXT) | instid1(VALU_DEP_2)
	v_add_f64 v[0:1], v[0:1], v[172:173]
	v_add_f64 v[2:3], v[2:3], v[174:175]
	s_delay_alu instid0(VALU_DEP_2) | instskip(NEXT) | instid1(VALU_DEP_2)
	;; [unrolled: 3-line block ×4, first 2 shown]
	v_add_f64 v[199:200], v[0:1], v[184:185]
	v_add_f64 v[201:202], v[2:3], v[186:187]
	v_add_f64 v[184:185], v[184:185], -v[188:189]
	s_delay_alu instid0(VALU_DEP_3) | instskip(NEXT) | instid1(VALU_DEP_3)
	v_add_f64 v[0:1], v[199:200], v[188:189]
	v_add_f64 v[2:3], v[201:202], v[190:191]
	ds_load_b128 v[199:202], v254 offset:6656
	ds_load_b128 v[203:206], v254 offset:7488
	;; [unrolled: 1-line block ×4, first 2 shown]
	s_waitcnt lgkmcnt(3)
	v_add_f64 v[186:187], v[180:181], v[199:200]
	v_add_f64 v[188:189], v[182:183], v[201:202]
	v_add_f64 v[180:181], v[180:181], -v[199:200]
	v_add_f64 v[190:191], v[182:183], -v[201:202]
	s_waitcnt lgkmcnt(2)
	v_add_f64 v[182:183], v[176:177], v[203:204]
	v_add_f64 v[176:177], v[176:177], -v[203:204]
	v_add_f64 v[0:1], v[0:1], v[199:200]
	v_add_f64 v[2:3], v[2:3], v[201:202]
	v_add_f64 v[199:200], v[178:179], v[205:206]
	v_add_f64 v[201:202], v[178:179], -v[205:206]
	s_waitcnt lgkmcnt(1)
	v_add_f64 v[178:179], v[172:173], v[207:208]
	v_add_f64 v[172:173], v[172:173], -v[207:208]
	v_add_f64 v[0:1], v[0:1], v[203:204]
	v_add_f64 v[2:3], v[2:3], v[205:206]
	v_add_f64 v[203:204], v[174:175], v[209:210]
	;; [unrolled: 7-line block ×3, first 2 shown]
	v_add_f64 v[170:171], v[170:171], -v[213:214]
	s_delay_alu instid0(VALU_DEP_4)
	v_add_f64 v[0:1], v[0:1], v[211:212]
	ds_load_b128 v[209:212], v254 offset:9984
	v_add_f64 v[2:3], v[2:3], v[213:214]
	s_waitcnt lgkmcnt(0)
	s_barrier
	buffer_gl0_inv
	v_add_f64 v[4:5], v[166:167], -v[211:212]
	v_add_f64 v[6:7], v[164:165], v[209:210]
	v_add_f64 v[8:9], v[166:167], v[211:212]
	v_add_f64 v[10:11], v[164:165], -v[209:210]
	v_add_f64 v[164:165], v[0:1], v[209:210]
	v_add_f64 v[166:167], v[2:3], v[211:212]
	v_mul_f64 v[0:1], v[4:5], s[30:31]
	v_mul_f64 v[2:3], v[4:5], s[28:29]
	v_mul_f64 v[12:13], v[4:5], s[12:13]
	v_mul_f64 v[14:15], v[4:5], s[0:1]
	v_mul_f64 v[16:17], v[4:5], s[10:11]
	v_mul_f64 v[4:5], v[4:5], s[42:43]
	v_mul_f64 v[30:31], v[8:9], s[16:17]
	v_mul_f64 v[32:33], v[8:9], s[8:9]
	v_mul_f64 v[34:35], v[8:9], s[14:15]
	v_mul_f64 v[36:37], v[8:9], s[20:21]
	v_fma_f64 v[18:19], v[6:7], s[18:19], v[0:1]
	v_fma_f64 v[0:1], v[6:7], s[18:19], -v[0:1]
	v_fma_f64 v[20:21], v[6:7], s[16:17], v[2:3]
	v_fma_f64 v[2:3], v[6:7], s[16:17], -v[2:3]
	;; [unrolled: 2-line block ×6, first 2 shown]
	v_mul_f64 v[6:7], v[8:9], s[18:19]
	v_mul_f64 v[8:9], v[8:9], s[38:39]
	v_fma_f64 v[40:41], v[10:11], s[24:25], v[30:31]
	v_fma_f64 v[46:47], v[10:11], s[36:37], v[36:37]
	;; [unrolled: 1-line block ×8, first 2 shown]
	v_add_f64 v[209:210], v[160:161], v[18:19]
	v_add_f64 v[215:216], v[160:161], v[0:1]
	;; [unrolled: 1-line block ×12, first 2 shown]
	v_mul_f64 v[4:5], v[170:171], s[0:1]
	v_fma_f64 v[48:49], v[10:11], s[40:41], v[8:9]
	v_fma_f64 v[8:9], v[10:11], s[42:43], v[8:9]
	;; [unrolled: 1-line block ×4, first 2 shown]
	v_add_f64 v[225:226], v[162:163], v[36:37]
	v_add_f64 v[20:21], v[162:163], v[42:43]
	;; [unrolled: 1-line block ×9, first 2 shown]
	v_fma_f64 v[8:9], v[174:175], s[14:15], v[4:5]
	v_add_f64 v[213:214], v[162:163], v[6:7]
	v_add_f64 v[6:7], v[162:163], v[40:41]
	;; [unrolled: 1-line block ×3, first 2 shown]
	v_fma_f64 v[4:5], v[174:175], s[14:15], -v[4:5]
	v_add_f64 v[0:1], v[8:9], v[0:1]
	v_mul_f64 v[8:9], v[207:208], s[14:15]
	s_delay_alu instid0(VALU_DEP_3) | instskip(NEXT) | instid1(VALU_DEP_2)
	v_add_f64 v[2:3], v[4:5], v[2:3]
	v_fma_f64 v[16:17], v[168:169], s[34:35], v[8:9]
	v_fma_f64 v[4:5], v[168:169], s[0:1], v[8:9]
	v_mul_f64 v[8:9], v[205:206], s[34:35]
	s_delay_alu instid0(VALU_DEP_3) | instskip(SKIP_1) | instid1(VALU_DEP_4)
	v_add_f64 v[6:7], v[16:17], v[6:7]
	v_mul_f64 v[16:17], v[205:206], s[42:43]
	v_add_f64 v[4:5], v[4:5], v[10:11]
	s_delay_alu instid0(VALU_DEP_4) | instskip(NEXT) | instid1(VALU_DEP_3)
	v_fma_f64 v[10:11], v[178:179], s[14:15], v[8:9]
	v_fma_f64 v[28:29], v[178:179], s[38:39], v[16:17]
	s_delay_alu instid0(VALU_DEP_1) | instskip(SKIP_1) | instid1(VALU_DEP_1)
	v_add_f64 v[0:1], v[28:29], v[0:1]
	v_mul_f64 v[28:29], v[203:204], s[38:39]
	v_fma_f64 v[36:37], v[172:173], s[40:41], v[28:29]
	s_delay_alu instid0(VALU_DEP_1) | instskip(SKIP_1) | instid1(VALU_DEP_1)
	v_add_f64 v[6:7], v[36:37], v[6:7]
	v_mul_f64 v[36:37], v[201:202], s[36:37]
	;; [unrolled: 4-line block ×7, first 2 shown]
	v_fma_f64 v[46:47], v[184:185], s[30:31], v[0:1]
	v_fma_f64 v[0:1], v[184:185], s[26:27], v[0:1]
	s_delay_alu instid0(VALU_DEP_2) | instskip(SKIP_1) | instid1(VALU_DEP_1)
	v_add_f64 v[232:233], v[46:47], v[6:7]
	v_fma_f64 v[6:7], v[178:179], s[38:39], -v[16:17]
	v_add_f64 v[2:3], v[6:7], v[2:3]
	v_fma_f64 v[6:7], v[172:173], s[42:43], v[28:29]
	s_delay_alu instid0(VALU_DEP_1) | instskip(SKIP_1) | instid1(VALU_DEP_1)
	v_add_f64 v[4:5], v[6:7], v[4:5]
	v_fma_f64 v[6:7], v[182:183], s[20:21], -v[36:37]
	v_add_f64 v[2:3], v[6:7], v[2:3]
	v_fma_f64 v[6:7], v[176:177], s[36:37], v[38:39]
	s_delay_alu instid0(VALU_DEP_1) | instskip(SKIP_1) | instid1(VALU_DEP_1)
	v_add_f64 v[4:5], v[6:7], v[4:5]
	v_fma_f64 v[6:7], v[186:187], s[8:9], -v[40:41]
	v_add_f64 v[2:3], v[6:7], v[2:3]
	v_fma_f64 v[6:7], v[180:181], s[22:23], v[42:43]
	s_delay_alu instid0(VALU_DEP_1) | instskip(SKIP_1) | instid1(VALU_DEP_2)
	v_add_f64 v[4:5], v[6:7], v[4:5]
	v_fma_f64 v[6:7], v[193:194], s[18:19], -v[44:45]
	v_add_f64 v[162:163], v[0:1], v[4:5]
	v_mul_f64 v[0:1], v[170:171], s[42:43]
	s_delay_alu instid0(VALU_DEP_3) | instskip(SKIP_1) | instid1(VALU_DEP_3)
	v_add_f64 v[160:161], v[6:7], v[2:3]
	v_mul_f64 v[4:5], v[207:208], s[38:39]
	v_fma_f64 v[2:3], v[174:175], s[38:39], v[0:1]
	v_fma_f64 v[0:1], v[174:175], s[38:39], -v[0:1]
	s_delay_alu instid0(VALU_DEP_3) | instskip(SKIP_1) | instid1(VALU_DEP_4)
	v_fma_f64 v[6:7], v[168:169], s[40:41], v[4:5]
	v_fma_f64 v[4:5], v[168:169], s[42:43], v[4:5]
	v_add_f64 v[2:3], v[2:3], v[18:19]
	s_delay_alu instid0(VALU_DEP_4) | instskip(NEXT) | instid1(VALU_DEP_4)
	v_add_f64 v[0:1], v[0:1], v[12:13]
	v_add_f64 v[6:7], v[6:7], v[20:21]
	s_delay_alu instid0(VALU_DEP_4) | instskip(NEXT) | instid1(VALU_DEP_4)
	v_add_f64 v[4:5], v[4:5], v[22:23]
	v_add_f64 v[2:3], v[10:11], v[2:3]
	v_mul_f64 v[10:11], v[203:204], s[14:15]
	s_delay_alu instid0(VALU_DEP_1) | instskip(NEXT) | instid1(VALU_DEP_1)
	v_fma_f64 v[16:17], v[172:173], s[0:1], v[10:11]
	v_add_f64 v[6:7], v[16:17], v[6:7]
	v_mul_f64 v[16:17], v[201:202], s[26:27]
	s_delay_alu instid0(VALU_DEP_1) | instskip(NEXT) | instid1(VALU_DEP_1)
	v_fma_f64 v[18:19], v[182:183], s[18:19], v[16:17]
	;; [unrolled: 4-line block ×6, first 2 shown]
	v_add_f64 v[234:235], v[38:39], v[2:3]
	v_mul_f64 v[2:3], v[195:196], s[20:21]
	s_delay_alu instid0(VALU_DEP_1) | instskip(SKIP_1) | instid1(VALU_DEP_2)
	v_fma_f64 v[38:39], v[184:185], s[36:37], v[2:3]
	v_fma_f64 v[2:3], v[184:185], s[10:11], v[2:3]
	v_add_f64 v[236:237], v[38:39], v[6:7]
	v_fma_f64 v[6:7], v[178:179], s[14:15], -v[8:9]
	v_mul_f64 v[8:9], v[205:206], s[26:27]
	s_delay_alu instid0(VALU_DEP_2) | instskip(SKIP_1) | instid1(VALU_DEP_3)
	v_add_f64 v[0:1], v[6:7], v[0:1]
	v_fma_f64 v[6:7], v[172:173], s[34:35], v[10:11]
	v_fma_f64 v[10:11], v[178:179], s[18:19], v[8:9]
	s_delay_alu instid0(VALU_DEP_2) | instskip(SKIP_1) | instid1(VALU_DEP_1)
	v_add_f64 v[4:5], v[6:7], v[4:5]
	v_fma_f64 v[6:7], v[182:183], s[18:19], -v[16:17]
	v_add_f64 v[0:1], v[6:7], v[0:1]
	v_fma_f64 v[6:7], v[176:177], s[26:27], v[18:19]
	s_delay_alu instid0(VALU_DEP_1) | instskip(SKIP_1) | instid1(VALU_DEP_1)
	v_add_f64 v[4:5], v[6:7], v[4:5]
	v_fma_f64 v[6:7], v[186:187], s[16:17], -v[20:21]
	v_add_f64 v[0:1], v[6:7], v[0:1]
	v_fma_f64 v[6:7], v[180:181], s[28:29], v[28:29]
	s_delay_alu instid0(VALU_DEP_1) | instskip(SKIP_1) | instid1(VALU_DEP_2)
	v_add_f64 v[4:5], v[6:7], v[4:5]
	v_fma_f64 v[6:7], v[193:194], s[20:21], -v[36:37]
	v_add_f64 v[240:241], v[2:3], v[4:5]
	s_delay_alu instid0(VALU_DEP_2) | instskip(SKIP_2) | instid1(VALU_DEP_2)
	v_add_f64 v[238:239], v[6:7], v[0:1]
	v_mul_f64 v[0:1], v[170:171], s[36:37]
	v_mul_f64 v[4:5], v[207:208], s[20:21]
	v_fma_f64 v[2:3], v[174:175], s[20:21], v[0:1]
	s_delay_alu instid0(VALU_DEP_2) | instskip(SKIP_2) | instid1(VALU_DEP_4)
	v_fma_f64 v[6:7], v[168:169], s[10:11], v[4:5]
	v_fma_f64 v[0:1], v[174:175], s[20:21], -v[0:1]
	v_fma_f64 v[4:5], v[168:169], s[36:37], v[4:5]
	v_add_f64 v[2:3], v[2:3], v[24:25]
	s_delay_alu instid0(VALU_DEP_4) | instskip(NEXT) | instid1(VALU_DEP_4)
	v_add_f64 v[6:7], v[6:7], v[30:31]
	v_add_f64 v[0:1], v[0:1], v[14:15]
	s_delay_alu instid0(VALU_DEP_4) | instskip(NEXT) | instid1(VALU_DEP_4)
	v_add_f64 v[4:5], v[4:5], v[32:33]
	v_add_f64 v[2:3], v[10:11], v[2:3]
	v_mul_f64 v[10:11], v[203:204], s[18:19]
	s_delay_alu instid0(VALU_DEP_1) | instskip(NEXT) | instid1(VALU_DEP_1)
	v_fma_f64 v[12:13], v[172:173], s[30:31], v[10:11]
	v_add_f64 v[6:7], v[12:13], v[6:7]
	v_mul_f64 v[12:13], v[201:202], s[12:13]
	s_delay_alu instid0(VALU_DEP_1) | instskip(NEXT) | instid1(VALU_DEP_1)
	v_fma_f64 v[16:17], v[182:183], s[8:9], v[12:13]
	;; [unrolled: 4-line block ×6, first 2 shown]
	v_add_f64 v[242:243], v[24:25], v[2:3]
	v_mul_f64 v[2:3], v[195:196], s[16:17]
	s_delay_alu instid0(VALU_DEP_1) | instskip(SKIP_1) | instid1(VALU_DEP_2)
	v_fma_f64 v[24:25], v[184:185], s[28:29], v[2:3]
	v_fma_f64 v[2:3], v[184:185], s[24:25], v[2:3]
	v_add_f64 v[244:245], v[24:25], v[6:7]
	v_fma_f64 v[6:7], v[178:179], s[18:19], -v[8:9]
	v_mul_f64 v[8:9], v[205:206], s[28:29]
	s_delay_alu instid0(VALU_DEP_2) | instskip(SKIP_1) | instid1(VALU_DEP_3)
	v_add_f64 v[0:1], v[6:7], v[0:1]
	v_fma_f64 v[6:7], v[172:173], s[26:27], v[10:11]
	v_fma_f64 v[10:11], v[178:179], s[16:17], v[8:9]
	s_delay_alu instid0(VALU_DEP_2) | instskip(SKIP_1) | instid1(VALU_DEP_1)
	v_add_f64 v[4:5], v[6:7], v[4:5]
	v_fma_f64 v[6:7], v[182:183], s[8:9], -v[12:13]
	v_add_f64 v[0:1], v[6:7], v[0:1]
	v_fma_f64 v[6:7], v[176:177], s[12:13], v[16:17]
	s_delay_alu instid0(VALU_DEP_1) | instskip(SKIP_1) | instid1(VALU_DEP_1)
	v_add_f64 v[4:5], v[6:7], v[4:5]
	v_fma_f64 v[6:7], v[186:187], s[38:39], -v[18:19]
	v_add_f64 v[0:1], v[6:7], v[0:1]
	v_fma_f64 v[6:7], v[180:181], s[40:41], v[20:21]
	s_delay_alu instid0(VALU_DEP_1) | instskip(SKIP_1) | instid1(VALU_DEP_2)
	v_add_f64 v[4:5], v[6:7], v[4:5]
	v_fma_f64 v[6:7], v[193:194], s[16:17], -v[22:23]
	v_add_f64 v[248:249], v[2:3], v[4:5]
	s_delay_alu instid0(VALU_DEP_2) | instskip(SKIP_2) | instid1(VALU_DEP_2)
	v_add_f64 v[246:247], v[6:7], v[0:1]
	v_mul_f64 v[0:1], v[170:171], s[22:23]
	v_mul_f64 v[4:5], v[207:208], s[8:9]
	v_fma_f64 v[2:3], v[174:175], s[8:9], v[0:1]
	s_delay_alu instid0(VALU_DEP_2) | instskip(SKIP_2) | instid1(VALU_DEP_4)
	v_fma_f64 v[6:7], v[168:169], s[12:13], v[4:5]
	v_fma_f64 v[0:1], v[174:175], s[8:9], -v[0:1]
	v_fma_f64 v[4:5], v[168:169], s[22:23], v[4:5]
	v_add_f64 v[2:3], v[2:3], v[26:27]
	s_delay_alu instid0(VALU_DEP_4) | instskip(NEXT) | instid1(VALU_DEP_4)
	v_add_f64 v[6:7], v[6:7], v[34:35]
	v_add_f64 v[0:1], v[0:1], v[227:228]
	s_delay_alu instid0(VALU_DEP_4) | instskip(NEXT) | instid1(VALU_DEP_4)
	v_add_f64 v[4:5], v[4:5], v[225:226]
	v_add_f64 v[2:3], v[10:11], v[2:3]
	v_mul_f64 v[10:11], v[203:204], s[16:17]
	s_delay_alu instid0(VALU_DEP_1) | instskip(NEXT) | instid1(VALU_DEP_1)
	v_fma_f64 v[12:13], v[172:173], s[24:25], v[10:11]
	v_add_f64 v[6:7], v[12:13], v[6:7]
	v_mul_f64 v[12:13], v[201:202], s[40:41]
	s_delay_alu instid0(VALU_DEP_1) | instskip(NEXT) | instid1(VALU_DEP_1)
	v_fma_f64 v[14:15], v[182:183], s[38:39], v[12:13]
	;; [unrolled: 4-line block ×6, first 2 shown]
	v_add_f64 v[250:251], v[22:23], v[2:3]
	v_mul_f64 v[2:3], v[195:196], s[14:15]
	s_delay_alu instid0(VALU_DEP_1) | instskip(SKIP_1) | instid1(VALU_DEP_2)
	v_fma_f64 v[22:23], v[184:185], s[34:35], v[2:3]
	v_fma_f64 v[2:3], v[184:185], s[0:1], v[2:3]
	v_add_f64 v[252:253], v[22:23], v[6:7]
	v_fma_f64 v[6:7], v[178:179], s[16:17], -v[8:9]
	v_mul_f64 v[8:9], v[205:206], s[10:11]
	s_delay_alu instid0(VALU_DEP_2) | instskip(SKIP_1) | instid1(VALU_DEP_3)
	v_add_f64 v[0:1], v[6:7], v[0:1]
	v_fma_f64 v[6:7], v[172:173], s[28:29], v[10:11]
	v_fma_f64 v[10:11], v[178:179], s[20:21], v[8:9]
	s_delay_alu instid0(VALU_DEP_2) | instskip(SKIP_1) | instid1(VALU_DEP_1)
	v_add_f64 v[4:5], v[6:7], v[4:5]
	v_fma_f64 v[6:7], v[182:183], s[38:39], -v[12:13]
	v_add_f64 v[0:1], v[6:7], v[0:1]
	v_fma_f64 v[6:7], v[176:177], s[40:41], v[14:15]
	s_delay_alu instid0(VALU_DEP_1) | instskip(SKIP_1) | instid1(VALU_DEP_1)
	v_add_f64 v[4:5], v[6:7], v[4:5]
	v_fma_f64 v[6:7], v[186:187], s[18:19], -v[16:17]
	v_add_f64 v[0:1], v[6:7], v[0:1]
	v_fma_f64 v[6:7], v[180:181], s[26:27], v[18:19]
	s_delay_alu instid0(VALU_DEP_1) | instskip(SKIP_1) | instid1(VALU_DEP_2)
	v_add_f64 v[4:5], v[6:7], v[4:5]
	v_fma_f64 v[6:7], v[193:194], s[14:15], -v[20:21]
	v_add_f64 v[227:228], v[2:3], v[4:5]
	s_delay_alu instid0(VALU_DEP_2) | instskip(SKIP_2) | instid1(VALU_DEP_2)
	v_add_f64 v[225:226], v[6:7], v[0:1]
	v_mul_f64 v[0:1], v[170:171], s[26:27]
	v_mul_f64 v[4:5], v[207:208], s[18:19]
	v_fma_f64 v[2:3], v[174:175], s[18:19], v[0:1]
	s_delay_alu instid0(VALU_DEP_2) | instskip(SKIP_2) | instid1(VALU_DEP_4)
	v_fma_f64 v[6:7], v[168:169], s[30:31], v[4:5]
	v_fma_f64 v[0:1], v[174:175], s[18:19], -v[0:1]
	v_fma_f64 v[4:5], v[168:169], s[26:27], v[4:5]
	v_add_f64 v[2:3], v[2:3], v[223:224]
	s_delay_alu instid0(VALU_DEP_4) | instskip(NEXT) | instid1(VALU_DEP_4)
	v_add_f64 v[6:7], v[6:7], v[221:222]
	v_add_f64 v[0:1], v[0:1], v[219:220]
	s_delay_alu instid0(VALU_DEP_4) | instskip(NEXT) | instid1(VALU_DEP_4)
	v_add_f64 v[4:5], v[4:5], v[217:218]
	v_add_f64 v[2:3], v[10:11], v[2:3]
	v_mul_f64 v[10:11], v[203:204], s[20:21]
	s_delay_alu instid0(VALU_DEP_1) | instskip(NEXT) | instid1(VALU_DEP_1)
	v_fma_f64 v[12:13], v[172:173], s[36:37], v[10:11]
	v_add_f64 v[6:7], v[12:13], v[6:7]
	v_mul_f64 v[12:13], v[201:202], s[24:25]
	s_delay_alu instid0(VALU_DEP_1) | instskip(NEXT) | instid1(VALU_DEP_1)
	v_fma_f64 v[14:15], v[182:183], s[16:17], v[12:13]
	;; [unrolled: 4-line block ×6, first 2 shown]
	v_add_f64 v[221:222], v[22:23], v[2:3]
	v_mul_f64 v[2:3], v[195:196], s[8:9]
	s_delay_alu instid0(VALU_DEP_1) | instskip(SKIP_1) | instid1(VALU_DEP_2)
	v_fma_f64 v[22:23], v[184:185], s[12:13], v[2:3]
	v_fma_f64 v[2:3], v[184:185], s[22:23], v[2:3]
	v_add_f64 v[223:224], v[22:23], v[6:7]
	v_fma_f64 v[6:7], v[178:179], s[20:21], -v[8:9]
	v_mul_f64 v[8:9], v[205:206], s[12:13]
	v_mul_f64 v[22:23], v[195:196], s[38:39]
	s_delay_alu instid0(VALU_DEP_3) | instskip(SKIP_1) | instid1(VALU_DEP_4)
	v_add_f64 v[0:1], v[6:7], v[0:1]
	v_fma_f64 v[6:7], v[172:173], s[10:11], v[10:11]
	v_fma_f64 v[10:11], v[178:179], s[8:9], -v[8:9]
	s_delay_alu instid0(VALU_DEP_2) | instskip(SKIP_1) | instid1(VALU_DEP_1)
	v_add_f64 v[4:5], v[6:7], v[4:5]
	v_fma_f64 v[6:7], v[182:183], s[16:17], -v[12:13]
	v_add_f64 v[0:1], v[6:7], v[0:1]
	v_fma_f64 v[6:7], v[176:177], s[24:25], v[14:15]
	s_delay_alu instid0(VALU_DEP_1) | instskip(SKIP_1) | instid1(VALU_DEP_1)
	v_add_f64 v[4:5], v[6:7], v[4:5]
	v_fma_f64 v[6:7], v[186:187], s[14:15], -v[16:17]
	v_add_f64 v[0:1], v[6:7], v[0:1]
	v_fma_f64 v[6:7], v[180:181], s[0:1], v[18:19]
	s_delay_alu instid0(VALU_DEP_1) | instskip(SKIP_1) | instid1(VALU_DEP_2)
	v_add_f64 v[4:5], v[6:7], v[4:5]
	v_fma_f64 v[6:7], v[193:194], s[8:9], -v[20:21]
	v_add_f64 v[219:220], v[2:3], v[4:5]
	s_delay_alu instid0(VALU_DEP_2) | instskip(SKIP_2) | instid1(VALU_DEP_2)
	v_add_f64 v[217:218], v[6:7], v[0:1]
	v_mul_f64 v[0:1], v[170:171], s[28:29]
	v_mul_f64 v[4:5], v[207:208], s[16:17]
	v_fma_f64 v[2:3], v[174:175], s[16:17], -v[0:1]
	s_delay_alu instid0(VALU_DEP_2) | instskip(SKIP_1) | instid1(VALU_DEP_3)
	v_fma_f64 v[6:7], v[168:169], s[28:29], v[4:5]
	v_fma_f64 v[0:1], v[174:175], s[16:17], v[0:1]
	v_add_f64 v[2:3], v[2:3], v[215:216]
	s_delay_alu instid0(VALU_DEP_3) | instskip(NEXT) | instid1(VALU_DEP_3)
	v_add_f64 v[6:7], v[6:7], v[213:214]
	v_add_f64 v[0:1], v[0:1], v[209:210]
	s_delay_alu instid0(VALU_DEP_3) | instskip(SKIP_1) | instid1(VALU_DEP_1)
	v_add_f64 v[2:3], v[10:11], v[2:3]
	v_mul_f64 v[10:11], v[203:204], s[8:9]
	v_fma_f64 v[12:13], v[172:173], s[12:13], v[10:11]
	s_delay_alu instid0(VALU_DEP_1) | instskip(SKIP_1) | instid1(VALU_DEP_1)
	v_add_f64 v[6:7], v[12:13], v[6:7]
	v_mul_f64 v[12:13], v[201:202], s[0:1]
	v_fma_f64 v[14:15], v[182:183], s[14:15], -v[12:13]
	s_delay_alu instid0(VALU_DEP_1) | instskip(SKIP_1) | instid1(VALU_DEP_1)
	v_add_f64 v[2:3], v[14:15], v[2:3]
	v_mul_f64 v[14:15], v[199:200], s[14:15]
	v_fma_f64 v[16:17], v[176:177], s[0:1], v[14:15]
	s_delay_alu instid0(VALU_DEP_1) | instskip(SKIP_1) | instid1(VALU_DEP_1)
	v_add_f64 v[6:7], v[16:17], v[6:7]
	v_mul_f64 v[16:17], v[190:191], s[10:11]
	v_fma_f64 v[18:19], v[186:187], s[20:21], -v[16:17]
	s_delay_alu instid0(VALU_DEP_1) | instskip(SKIP_1) | instid1(VALU_DEP_1)
	v_add_f64 v[2:3], v[18:19], v[2:3]
	v_mul_f64 v[18:19], v[188:189], s[20:21]
	v_fma_f64 v[20:21], v[180:181], s[10:11], v[18:19]
	s_delay_alu instid0(VALU_DEP_1) | instskip(SKIP_1) | instid1(VALU_DEP_1)
	v_add_f64 v[6:7], v[20:21], v[6:7]
	v_mul_f64 v[20:21], v[197:198], s[42:43]
	v_fma_f64 v[24:25], v[193:194], s[38:39], -v[20:21]
	s_delay_alu instid0(VALU_DEP_1) | instskip(SKIP_1) | instid1(VALU_DEP_1)
	v_add_f64 v[188:189], v[24:25], v[2:3]
	v_fma_f64 v[2:3], v[184:185], s[42:43], v[22:23]
	v_add_f64 v[190:191], v[2:3], v[6:7]
	v_fma_f64 v[2:3], v[168:169], s[24:25], v[4:5]
	v_fma_f64 v[4:5], v[178:179], s[8:9], v[8:9]
	;; [unrolled: 1-line block ×5, first 2 shown]
	v_add_f64 v[2:3], v[2:3], v[211:212]
	v_add_f64 v[0:1], v[4:5], v[0:1]
	v_fma_f64 v[4:5], v[186:187], s[20:21], v[16:17]
	s_delay_alu instid0(VALU_DEP_3) | instskip(SKIP_1) | instid1(VALU_DEP_4)
	v_add_f64 v[2:3], v[6:7], v[2:3]
	v_fma_f64 v[6:7], v[180:181], s[36:37], v[18:19]
	v_add_f64 v[0:1], v[8:9], v[0:1]
	v_fma_f64 v[8:9], v[193:194], s[38:39], v[20:21]
	s_delay_alu instid0(VALU_DEP_4) | instskip(SKIP_1) | instid1(VALU_DEP_4)
	v_add_f64 v[2:3], v[10:11], v[2:3]
	v_fma_f64 v[10:11], v[184:185], s[40:41], v[22:23]
	v_add_f64 v[0:1], v[4:5], v[0:1]
	s_delay_alu instid0(VALU_DEP_3) | instskip(NEXT) | instid1(VALU_DEP_2)
	v_add_f64 v[2:3], v[6:7], v[2:3]
	v_add_f64 v[168:169], v[8:9], v[0:1]
	s_delay_alu instid0(VALU_DEP_2)
	v_add_f64 v[170:171], v[10:11], v[2:3]
	ds_store_b128 v229, v[230:233] offset:32
	ds_store_b128 v229, v[234:237] offset:48
	;; [unrolled: 1-line block ×12, first 2 shown]
	ds_store_b128 v229, v[164:167]
	s_waitcnt lgkmcnt(0)
	s_barrier
	buffer_gl0_inv
	ds_load_b128 v[160:163], v254 offset:832
	ds_load_b128 v[176:179], v254
	scratch_load_b128 v[4:7], off, off offset:220 ; 16-byte Folded Reload
	ds_load_b128 v[52:55], v254 offset:1664
	ds_load_b128 v[166:169], v254 offset:2496
	s_waitcnt vmcnt(0) lgkmcnt(3)
	v_mul_f64 v[0:1], v[6:7], v[162:163]
	v_mul_f64 v[2:3], v[6:7], v[160:161]
	scratch_load_b128 v[6:9], off, off offset:236 ; 16-byte Folded Reload
	v_fma_f64 v[0:1], v[4:5], v[160:161], v[0:1]
	v_fma_f64 v[2:3], v[4:5], v[162:163], -v[2:3]
	s_waitcnt lgkmcnt(2)
	s_delay_alu instid0(VALU_DEP_2) | instskip(NEXT) | instid1(VALU_DEP_2)
	v_add_f64 v[172:173], v[176:177], v[0:1]
	v_add_f64 v[174:175], v[178:179], v[2:3]
	s_waitcnt vmcnt(0) lgkmcnt(1)
	v_mul_f64 v[4:5], v[8:9], v[54:55]
	s_delay_alu instid0(VALU_DEP_1) | instskip(SKIP_1) | instid1(VALU_DEP_1)
	v_fma_f64 v[160:161], v[6:7], v[52:53], v[4:5]
	v_mul_f64 v[4:5], v[8:9], v[52:53]
	v_fma_f64 v[162:163], v[6:7], v[54:55], -v[4:5]
	scratch_load_b128 v[6:9], off, off offset:332 ; 16-byte Folded Reload
	ds_load_b128 v[52:55], v254 offset:3328
	ds_load_b128 v[72:75], v254 offset:4160
	s_waitcnt vmcnt(0) lgkmcnt(2)
	v_mul_f64 v[4:5], v[8:9], v[168:169]
	s_delay_alu instid0(VALU_DEP_1) | instskip(SKIP_1) | instid1(VALU_DEP_1)
	v_fma_f64 v[164:165], v[6:7], v[166:167], v[4:5]
	v_mul_f64 v[4:5], v[8:9], v[166:167]
	v_fma_f64 v[140:141], v[6:7], v[168:169], -v[4:5]
	scratch_load_b128 v[6:9], off, off offset:284 ; 16-byte Folded Reload
	s_waitcnt vmcnt(0) lgkmcnt(1)
	v_mul_f64 v[4:5], v[8:9], v[54:55]
	s_delay_alu instid0(VALU_DEP_1) | instskip(SKIP_1) | instid1(VALU_DEP_1)
	v_fma_f64 v[142:143], v[6:7], v[52:53], v[4:5]
	v_mul_f64 v[4:5], v[8:9], v[52:53]
	v_fma_f64 v[128:129], v[6:7], v[54:55], -v[4:5]
	s_waitcnt lgkmcnt(0)
	v_mul_f64 v[4:5], v[150:151], v[74:75]
	s_delay_alu instid0(VALU_DEP_1) | instskip(SKIP_1) | instid1(VALU_DEP_1)
	v_fma_f64 v[130:131], v[148:149], v[72:73], v[4:5]
	v_mul_f64 v[4:5], v[150:151], v[72:73]
	v_fma_f64 v[148:149], v[148:149], v[74:75], -v[4:5]
	ds_load_b128 v[52:55], v254 offset:4992
	ds_load_b128 v[72:75], v254 offset:5824
	scratch_load_b128 v[6:9], off, off offset:300 ; 16-byte Folded Reload
	s_waitcnt vmcnt(0) lgkmcnt(1)
	v_mul_f64 v[4:5], v[8:9], v[54:55]
	s_delay_alu instid0(VALU_DEP_1) | instskip(SKIP_1) | instid1(VALU_DEP_1)
	v_fma_f64 v[150:151], v[6:7], v[52:53], v[4:5]
	v_mul_f64 v[4:5], v[8:9], v[52:53]
	v_fma_f64 v[132:133], v[6:7], v[54:55], -v[4:5]
	s_waitcnt lgkmcnt(0)
	v_mul_f64 v[4:5], v[154:155], v[74:75]
	s_delay_alu instid0(VALU_DEP_1) | instskip(SKIP_1) | instid1(VALU_DEP_2)
	v_fma_f64 v[134:135], v[152:153], v[72:73], v[4:5]
	v_mul_f64 v[4:5], v[154:155], v[72:73]
	v_add_f64 v[241:242], v[150:151], v[134:135]
	s_delay_alu instid0(VALU_DEP_2)
	v_fma_f64 v[152:153], v[152:153], v[74:75], -v[4:5]
	ds_load_b128 v[52:55], v254 offset:6656
	ds_load_b128 v[72:75], v254 offset:7488
	scratch_load_b128 v[6:9], off, off offset:316 ; 16-byte Folded Reload
	v_add_f64 v[251:252], v[132:133], -v[152:153]
	s_waitcnt vmcnt(0) lgkmcnt(1)
	v_mul_f64 v[4:5], v[8:9], v[54:55]
	s_delay_alu instid0(VALU_DEP_1) | instskip(SKIP_1) | instid1(VALU_DEP_2)
	v_fma_f64 v[154:155], v[6:7], v[52:53], v[4:5]
	v_mul_f64 v[4:5], v[8:9], v[52:53]
	v_add_f64 v[229:230], v[130:131], v[154:155]
	s_delay_alu instid0(VALU_DEP_2) | instskip(SKIP_3) | instid1(VALU_DEP_3)
	v_fma_f64 v[136:137], v[6:7], v[54:55], -v[4:5]
	s_waitcnt lgkmcnt(0)
	v_mul_f64 v[4:5], v[158:159], v[74:75]
	v_add_f64 v[231:232], v[130:131], -v[154:155]
	v_add_f64 v[243:244], v[148:149], -v[136:137]
	s_delay_alu instid0(VALU_DEP_3) | instskip(SKIP_2) | instid1(VALU_DEP_3)
	v_fma_f64 v[138:139], v[156:157], v[72:73], v[4:5]
	v_mul_f64 v[4:5], v[158:159], v[72:73]
	v_add_f64 v[245:246], v[148:149], v[136:137]
	v_add_f64 v[217:218], v[142:143], v[138:139]
	s_delay_alu instid0(VALU_DEP_3)
	v_fma_f64 v[156:157], v[156:157], v[74:75], -v[4:5]
	ds_load_b128 v[52:55], v254 offset:8320
	ds_load_b128 v[72:75], v254 offset:9152
	scratch_load_b128 v[6:9], off, off offset:348 ; 16-byte Folded Reload
	v_add_f64 v[219:220], v[142:143], -v[138:139]
	v_add_f64 v[233:234], v[128:129], -v[156:157]
	v_add_f64 v[235:236], v[128:129], v[156:157]
	s_waitcnt vmcnt(0) lgkmcnt(1)
	v_mul_f64 v[4:5], v[8:9], v[54:55]
	s_delay_alu instid0(VALU_DEP_1) | instskip(SKIP_1) | instid1(VALU_DEP_2)
	v_fma_f64 v[158:159], v[6:7], v[52:53], v[4:5]
	v_mul_f64 v[4:5], v[8:9], v[52:53]
	v_add_f64 v[193:194], v[164:165], v[158:159]
	s_delay_alu instid0(VALU_DEP_2)
	v_fma_f64 v[144:145], v[6:7], v[54:55], -v[4:5]
	scratch_load_b128 v[6:9], off, off offset:268 ; 16-byte Folded Reload
	ds_load_b128 v[52:55], v254 offset:9984
	v_add_f64 v[195:196], v[164:165], -v[158:159]
	v_add_f64 v[225:226], v[140:141], -v[144:145]
	v_add_f64 v[227:228], v[140:141], v[144:145]
	s_delay_alu instid0(VALU_DEP_2) | instskip(NEXT) | instid1(VALU_DEP_2)
	v_mul_f64 v[247:248], v[225:226], s[12:13]
	v_mul_f64 v[249:250], v[227:228], s[8:9]
	s_waitcnt vmcnt(0) lgkmcnt(1)
	v_mul_f64 v[4:5], v[8:9], v[74:75]
	s_delay_alu instid0(VALU_DEP_1) | instskip(SKIP_1) | instid1(VALU_DEP_2)
	v_fma_f64 v[146:147], v[6:7], v[72:73], v[4:5]
	v_mul_f64 v[4:5], v[8:9], v[72:73]
	v_add_f64 v[180:181], v[160:161], v[146:147]
	s_delay_alu instid0(VALU_DEP_2)
	v_fma_f64 v[166:167], v[6:7], v[74:75], -v[4:5]
	scratch_load_b128 v[6:9], off, off offset:252 ; 16-byte Folded Reload
	v_add_f64 v[182:183], v[160:161], -v[146:147]
	s_waitcnt vmcnt(0) lgkmcnt(0)
	s_barrier
	buffer_gl0_inv
	v_add_f64 v[201:202], v[162:163], -v[166:167]
	v_add_f64 v[203:204], v[162:163], v[166:167]
	s_delay_alu instid0(VALU_DEP_2) | instskip(NEXT) | instid1(VALU_DEP_2)
	v_mul_f64 v[237:238], v[201:202], s[28:29]
	v_mul_f64 v[239:240], v[203:204], s[16:17]
	;; [unrolled: 1-line block ×3, first 2 shown]
	s_delay_alu instid0(VALU_DEP_1) | instskip(SKIP_1) | instid1(VALU_DEP_1)
	v_fma_f64 v[168:169], v[6:7], v[54:55], -v[4:5]
	v_mul_f64 v[4:5], v[8:9], v[54:55]
	v_fma_f64 v[170:171], v[6:7], v[52:53], v[4:5]
	s_delay_alu instid0(VALU_DEP_3) | instskip(NEXT) | instid1(VALU_DEP_2)
	v_add_f64 v[4:5], v[2:3], -v[168:169]
	v_add_f64 v[16:17], v[0:1], v[170:171]
	s_delay_alu instid0(VALU_DEP_2)
	v_mul_f64 v[6:7], v[4:5], s[30:31]
	v_mul_f64 v[8:9], v[4:5], s[28:29]
	;; [unrolled: 1-line block ×6, first 2 shown]
	v_add_f64 v[40:41], v[0:1], -v[170:171]
	v_fma_f64 v[18:19], v[16:17], s[18:19], v[6:7]
	v_fma_f64 v[6:7], v[16:17], s[18:19], -v[6:7]
	v_fma_f64 v[20:21], v[16:17], s[16:17], v[8:9]
	v_fma_f64 v[8:9], v[16:17], s[16:17], -v[8:9]
	;; [unrolled: 2-line block ×6, first 2 shown]
	v_add_f64 v[16:17], v[2:3], v[168:169]
	v_add_f64 v[0:1], v[176:177], v[18:19]
	;; [unrolled: 1-line block ×13, first 2 shown]
	v_mul_f64 v[30:31], v[16:17], s[18:19]
	v_fma_f64 v[4:5], v[180:181], s[16:17], v[237:238]
	v_mul_f64 v[32:33], v[16:17], s[16:17]
	v_mul_f64 v[34:35], v[16:17], s[8:9]
	;; [unrolled: 1-line block ×5, first 2 shown]
	v_fma_f64 v[20:21], v[193:194], s[8:9], -v[247:248]
	v_fma_f64 v[42:43], v[40:41], s[26:27], v[30:31]
	v_add_f64 v[0:1], v[4:5], v[0:1]
	v_fma_f64 v[4:5], v[182:183], s[24:25], v[239:240]
	v_fma_f64 v[30:31], v[40:41], s[30:31], v[30:31]
	;; [unrolled: 1-line block ×12, first 2 shown]
	v_add_f64 v[2:3], v[178:179], v[42:43]
	v_add_f64 v[52:53], v[178:179], v[30:31]
	;; [unrolled: 1-line block ×13, first 2 shown]
	v_fma_f64 v[4:5], v[193:194], s[8:9], v[247:248]
	s_delay_alu instid0(VALU_DEP_1) | instskip(SKIP_1) | instid1(VALU_DEP_1)
	v_add_f64 v[0:1], v[4:5], v[0:1]
	v_fma_f64 v[4:5], v[195:196], s[22:23], v[249:250]
	v_add_f64 v[2:3], v[4:5], v[2:3]
	v_mul_f64 v[4:5], v[233:234], s[0:1]
	s_delay_alu instid0(VALU_DEP_1) | instskip(SKIP_1) | instid1(VALU_DEP_2)
	v_fma_f64 v[6:7], v[217:218], s[14:15], v[4:5]
	v_fma_f64 v[4:5], v[217:218], s[14:15], -v[4:5]
	v_add_f64 v[0:1], v[6:7], v[0:1]
	v_mul_f64 v[6:7], v[235:236], s[14:15]
	s_delay_alu instid0(VALU_DEP_1) | instskip(NEXT) | instid1(VALU_DEP_1)
	v_fma_f64 v[8:9], v[219:220], s[34:35], v[6:7]
	v_add_f64 v[2:3], v[8:9], v[2:3]
	v_mul_f64 v[8:9], v[243:244], s[10:11]
	s_delay_alu instid0(VALU_DEP_1) | instskip(NEXT) | instid1(VALU_DEP_1)
	v_fma_f64 v[10:11], v[229:230], s[20:21], v[8:9]
	;; [unrolled: 4-line block ×4, first 2 shown]
	v_add_f64 v[72:73], v[14:15], v[0:1]
	v_add_f64 v[0:1], v[132:133], v[152:153]
	v_add_f64 v[14:15], v[150:151], -v[134:135]
	s_delay_alu instid0(VALU_DEP_2) | instskip(NEXT) | instid1(VALU_DEP_1)
	v_mul_f64 v[16:17], v[0:1], s[38:39]
	v_fma_f64 v[18:19], v[14:15], s[40:41], v[16:17]
	s_delay_alu instid0(VALU_DEP_1) | instskip(SKIP_2) | instid1(VALU_DEP_2)
	v_add_f64 v[74:75], v[18:19], v[2:3]
	v_fma_f64 v[2:3], v[180:181], s[16:17], -v[237:238]
	v_fma_f64 v[18:19], v[182:183], s[28:29], v[239:240]
	v_add_f64 v[2:3], v[2:3], v[54:55]
	s_delay_alu instid0(VALU_DEP_2) | instskip(NEXT) | instid1(VALU_DEP_2)
	v_add_f64 v[18:19], v[18:19], v[52:53]
	v_add_f64 v[2:3], v[20:21], v[2:3]
	v_fma_f64 v[20:21], v[195:196], s[12:13], v[249:250]
	s_delay_alu instid0(VALU_DEP_2) | instskip(NEXT) | instid1(VALU_DEP_2)
	v_add_f64 v[2:3], v[4:5], v[2:3]
	v_add_f64 v[18:19], v[20:21], v[18:19]
	v_fma_f64 v[4:5], v[219:220], s[0:1], v[6:7]
	v_fma_f64 v[6:7], v[229:230], s[20:21], -v[8:9]
	v_fma_f64 v[8:9], v[14:15], s[42:43], v[16:17]
	s_delay_alu instid0(VALU_DEP_3) | instskip(NEXT) | instid1(VALU_DEP_3)
	v_add_f64 v[4:5], v[4:5], v[18:19]
	v_add_f64 v[2:3], v[6:7], v[2:3]
	v_fma_f64 v[6:7], v[231:232], s[10:11], v[10:11]
	v_mul_f64 v[10:11], v[225:226], s[42:43]
	s_delay_alu instid0(VALU_DEP_2) | instskip(SKIP_1) | instid1(VALU_DEP_3)
	v_add_f64 v[4:5], v[6:7], v[4:5]
	v_fma_f64 v[6:7], v[241:242], s[38:39], -v[12:13]
	v_fma_f64 v[12:13], v[193:194], s[38:39], v[10:11]
	s_delay_alu instid0(VALU_DEP_3) | instskip(NEXT) | instid1(VALU_DEP_3)
	v_add_f64 v[54:55], v[8:9], v[4:5]
	v_add_f64 v[52:53], v[6:7], v[2:3]
	v_mul_f64 v[2:3], v[201:202], s[0:1]
	v_mul_f64 v[6:7], v[203:204], s[14:15]
	s_delay_alu instid0(VALU_DEP_2) | instskip(NEXT) | instid1(VALU_DEP_2)
	v_fma_f64 v[4:5], v[180:181], s[14:15], v[2:3]
	v_fma_f64 v[8:9], v[182:183], s[34:35], v[6:7]
	v_fma_f64 v[2:3], v[180:181], s[14:15], -v[2:3]
	v_fma_f64 v[6:7], v[182:183], s[0:1], v[6:7]
	s_delay_alu instid0(VALU_DEP_4) | instskip(NEXT) | instid1(VALU_DEP_4)
	v_add_f64 v[4:5], v[4:5], v[118:119]
	v_add_f64 v[8:9], v[8:9], v[116:117]
	s_delay_alu instid0(VALU_DEP_4) | instskip(NEXT) | instid1(VALU_DEP_4)
	v_add_f64 v[2:3], v[2:3], v[110:111]
	v_add_f64 v[6:7], v[6:7], v[108:109]
	s_delay_alu instid0(VALU_DEP_4) | instskip(SKIP_1) | instid1(VALU_DEP_1)
	v_add_f64 v[4:5], v[12:13], v[4:5]
	v_mul_f64 v[12:13], v[227:228], s[38:39]
	v_fma_f64 v[16:17], v[195:196], s[40:41], v[12:13]
	s_delay_alu instid0(VALU_DEP_1) | instskip(SKIP_1) | instid1(VALU_DEP_1)
	v_add_f64 v[8:9], v[16:17], v[8:9]
	v_mul_f64 v[16:17], v[233:234], s[36:37]
	v_fma_f64 v[18:19], v[217:218], s[20:21], v[16:17]
	s_delay_alu instid0(VALU_DEP_1) | instskip(SKIP_1) | instid1(VALU_DEP_1)
	;; [unrolled: 4-line block ×6, first 2 shown]
	v_add_f64 v[116:117], v[26:27], v[4:5]
	v_mul_f64 v[4:5], v[0:1], s[18:19]
	v_fma_f64 v[26:27], v[14:15], s[30:31], v[4:5]
	v_fma_f64 v[4:5], v[14:15], s[26:27], v[4:5]
	s_delay_alu instid0(VALU_DEP_2) | instskip(SKIP_2) | instid1(VALU_DEP_2)
	v_add_f64 v[118:119], v[26:27], v[8:9]
	v_fma_f64 v[8:9], v[193:194], s[38:39], -v[10:11]
	v_mul_f64 v[10:11], v[225:226], s[34:35]
	v_add_f64 v[2:3], v[8:9], v[2:3]
	v_fma_f64 v[8:9], v[195:196], s[42:43], v[12:13]
	s_delay_alu instid0(VALU_DEP_3) | instskip(NEXT) | instid1(VALU_DEP_2)
	v_fma_f64 v[12:13], v[193:194], s[14:15], v[10:11]
	v_add_f64 v[6:7], v[8:9], v[6:7]
	v_fma_f64 v[8:9], v[217:218], s[20:21], -v[16:17]
	s_delay_alu instid0(VALU_DEP_1) | instskip(SKIP_1) | instid1(VALU_DEP_1)
	v_add_f64 v[2:3], v[8:9], v[2:3]
	v_fma_f64 v[8:9], v[219:220], s[36:37], v[18:19]
	v_add_f64 v[6:7], v[8:9], v[6:7]
	v_fma_f64 v[8:9], v[229:230], s[8:9], -v[20:21]
	s_delay_alu instid0(VALU_DEP_1) | instskip(SKIP_1) | instid1(VALU_DEP_1)
	v_add_f64 v[2:3], v[8:9], v[2:3]
	v_fma_f64 v[8:9], v[231:232], s[22:23], v[22:23]
	v_add_f64 v[6:7], v[8:9], v[6:7]
	v_fma_f64 v[8:9], v[241:242], s[18:19], -v[24:25]
	s_delay_alu instid0(VALU_DEP_2) | instskip(NEXT) | instid1(VALU_DEP_2)
	v_add_f64 v[110:111], v[4:5], v[6:7]
	v_add_f64 v[108:109], v[8:9], v[2:3]
	v_mul_f64 v[2:3], v[201:202], s[42:43]
	v_mul_f64 v[6:7], v[203:204], s[38:39]
	s_delay_alu instid0(VALU_DEP_2) | instskip(NEXT) | instid1(VALU_DEP_2)
	v_fma_f64 v[4:5], v[180:181], s[38:39], v[2:3]
	v_fma_f64 v[8:9], v[182:183], s[40:41], v[6:7]
	v_fma_f64 v[2:3], v[180:181], s[38:39], -v[2:3]
	v_fma_f64 v[6:7], v[182:183], s[42:43], v[6:7]
	s_delay_alu instid0(VALU_DEP_4) | instskip(NEXT) | instid1(VALU_DEP_4)
	v_add_f64 v[4:5], v[4:5], v[223:224]
	v_add_f64 v[8:9], v[8:9], v[221:222]
	s_delay_alu instid0(VALU_DEP_4) | instskip(NEXT) | instid1(VALU_DEP_4)
	v_add_f64 v[2:3], v[2:3], v[215:216]
	v_add_f64 v[6:7], v[6:7], v[213:214]
	s_delay_alu instid0(VALU_DEP_4) | instskip(SKIP_1) | instid1(VALU_DEP_1)
	v_add_f64 v[4:5], v[12:13], v[4:5]
	v_mul_f64 v[12:13], v[227:228], s[14:15]
	v_fma_f64 v[16:17], v[195:196], s[0:1], v[12:13]
	s_delay_alu instid0(VALU_DEP_1) | instskip(SKIP_1) | instid1(VALU_DEP_1)
	v_add_f64 v[8:9], v[16:17], v[8:9]
	v_mul_f64 v[16:17], v[233:234], s[26:27]
	v_fma_f64 v[18:19], v[217:218], s[18:19], v[16:17]
	s_delay_alu instid0(VALU_DEP_1) | instskip(SKIP_1) | instid1(VALU_DEP_1)
	;; [unrolled: 4-line block ×6, first 2 shown]
	v_add_f64 v[221:222], v[26:27], v[4:5]
	v_mul_f64 v[4:5], v[0:1], s[20:21]
	v_fma_f64 v[26:27], v[14:15], s[36:37], v[4:5]
	v_fma_f64 v[4:5], v[14:15], s[10:11], v[4:5]
	s_delay_alu instid0(VALU_DEP_2) | instskip(SKIP_2) | instid1(VALU_DEP_2)
	v_add_f64 v[223:224], v[26:27], v[8:9]
	v_fma_f64 v[8:9], v[193:194], s[14:15], -v[10:11]
	v_mul_f64 v[10:11], v[225:226], s[26:27]
	v_add_f64 v[2:3], v[8:9], v[2:3]
	v_fma_f64 v[8:9], v[195:196], s[34:35], v[12:13]
	s_delay_alu instid0(VALU_DEP_3) | instskip(NEXT) | instid1(VALU_DEP_2)
	v_fma_f64 v[12:13], v[193:194], s[18:19], v[10:11]
	v_add_f64 v[6:7], v[8:9], v[6:7]
	v_fma_f64 v[8:9], v[217:218], s[18:19], -v[16:17]
	s_delay_alu instid0(VALU_DEP_1) | instskip(SKIP_1) | instid1(VALU_DEP_1)
	v_add_f64 v[2:3], v[8:9], v[2:3]
	v_fma_f64 v[8:9], v[219:220], s[26:27], v[18:19]
	v_add_f64 v[6:7], v[8:9], v[6:7]
	v_fma_f64 v[8:9], v[229:230], s[16:17], -v[20:21]
	s_delay_alu instid0(VALU_DEP_1) | instskip(SKIP_1) | instid1(VALU_DEP_1)
	v_add_f64 v[2:3], v[8:9], v[2:3]
	v_fma_f64 v[8:9], v[231:232], s[28:29], v[22:23]
	v_add_f64 v[6:7], v[8:9], v[6:7]
	v_fma_f64 v[8:9], v[241:242], s[20:21], -v[24:25]
	s_delay_alu instid0(VALU_DEP_2) | instskip(NEXT) | instid1(VALU_DEP_2)
	v_add_f64 v[215:216], v[4:5], v[6:7]
	v_add_f64 v[213:214], v[8:9], v[2:3]
	v_mul_f64 v[2:3], v[201:202], s[36:37]
	v_mul_f64 v[6:7], v[203:204], s[20:21]
	s_delay_alu instid0(VALU_DEP_2) | instskip(NEXT) | instid1(VALU_DEP_2)
	v_fma_f64 v[4:5], v[180:181], s[20:21], v[2:3]
	v_fma_f64 v[8:9], v[182:183], s[10:11], v[6:7]
	v_fma_f64 v[2:3], v[180:181], s[20:21], -v[2:3]
	v_fma_f64 v[6:7], v[182:183], s[36:37], v[6:7]
	s_delay_alu instid0(VALU_DEP_4) | instskip(NEXT) | instid1(VALU_DEP_4)
	v_add_f64 v[4:5], v[4:5], v[211:212]
	v_add_f64 v[8:9], v[8:9], v[209:210]
	s_delay_alu instid0(VALU_DEP_4) | instskip(NEXT) | instid1(VALU_DEP_4)
	v_add_f64 v[2:3], v[2:3], v[207:208]
	v_add_f64 v[6:7], v[6:7], v[205:206]
	s_delay_alu instid0(VALU_DEP_4) | instskip(SKIP_1) | instid1(VALU_DEP_1)
	v_add_f64 v[4:5], v[12:13], v[4:5]
	v_mul_f64 v[12:13], v[227:228], s[18:19]
	v_fma_f64 v[16:17], v[195:196], s[30:31], v[12:13]
	s_delay_alu instid0(VALU_DEP_1) | instskip(SKIP_1) | instid1(VALU_DEP_1)
	v_add_f64 v[8:9], v[16:17], v[8:9]
	v_mul_f64 v[16:17], v[233:234], s[12:13]
	v_fma_f64 v[18:19], v[217:218], s[8:9], v[16:17]
	s_delay_alu instid0(VALU_DEP_1) | instskip(SKIP_1) | instid1(VALU_DEP_1)
	;; [unrolled: 4-line block ×6, first 2 shown]
	v_add_f64 v[209:210], v[26:27], v[4:5]
	v_mul_f64 v[4:5], v[0:1], s[16:17]
	v_fma_f64 v[26:27], v[14:15], s[28:29], v[4:5]
	v_fma_f64 v[4:5], v[14:15], s[24:25], v[4:5]
	s_delay_alu instid0(VALU_DEP_2) | instskip(SKIP_2) | instid1(VALU_DEP_2)
	v_add_f64 v[211:212], v[26:27], v[8:9]
	v_fma_f64 v[8:9], v[193:194], s[18:19], -v[10:11]
	v_mul_f64 v[10:11], v[225:226], s[28:29]
	v_add_f64 v[2:3], v[8:9], v[2:3]
	v_fma_f64 v[8:9], v[195:196], s[26:27], v[12:13]
	s_delay_alu instid0(VALU_DEP_3) | instskip(NEXT) | instid1(VALU_DEP_2)
	v_fma_f64 v[12:13], v[193:194], s[16:17], v[10:11]
	v_add_f64 v[6:7], v[8:9], v[6:7]
	v_fma_f64 v[8:9], v[217:218], s[8:9], -v[16:17]
	s_delay_alu instid0(VALU_DEP_1) | instskip(SKIP_1) | instid1(VALU_DEP_1)
	v_add_f64 v[2:3], v[8:9], v[2:3]
	v_fma_f64 v[8:9], v[219:220], s[12:13], v[18:19]
	v_add_f64 v[6:7], v[8:9], v[6:7]
	v_fma_f64 v[8:9], v[229:230], s[38:39], -v[20:21]
	s_delay_alu instid0(VALU_DEP_1) | instskip(SKIP_1) | instid1(VALU_DEP_1)
	v_add_f64 v[2:3], v[8:9], v[2:3]
	v_fma_f64 v[8:9], v[231:232], s[40:41], v[22:23]
	v_add_f64 v[6:7], v[8:9], v[6:7]
	v_fma_f64 v[8:9], v[241:242], s[16:17], -v[24:25]
	s_delay_alu instid0(VALU_DEP_2) | instskip(NEXT) | instid1(VALU_DEP_2)
	v_add_f64 v[207:208], v[4:5], v[6:7]
	v_add_f64 v[205:206], v[8:9], v[2:3]
	v_mul_f64 v[2:3], v[201:202], s[22:23]
	v_mul_f64 v[6:7], v[203:204], s[8:9]
	s_delay_alu instid0(VALU_DEP_2) | instskip(NEXT) | instid1(VALU_DEP_2)
	v_fma_f64 v[4:5], v[180:181], s[8:9], v[2:3]
	v_fma_f64 v[8:9], v[182:183], s[12:13], v[6:7]
	v_fma_f64 v[2:3], v[180:181], s[8:9], -v[2:3]
	v_fma_f64 v[6:7], v[182:183], s[22:23], v[6:7]
	s_delay_alu instid0(VALU_DEP_4) | instskip(NEXT) | instid1(VALU_DEP_4)
	v_add_f64 v[4:5], v[4:5], v[199:200]
	v_add_f64 v[8:9], v[8:9], v[197:198]
	s_delay_alu instid0(VALU_DEP_4) | instskip(NEXT) | instid1(VALU_DEP_4)
	v_add_f64 v[2:3], v[2:3], v[190:191]
	v_add_f64 v[6:7], v[6:7], v[188:189]
	s_delay_alu instid0(VALU_DEP_4) | instskip(SKIP_1) | instid1(VALU_DEP_1)
	v_add_f64 v[4:5], v[12:13], v[4:5]
	v_mul_f64 v[12:13], v[227:228], s[16:17]
	v_fma_f64 v[16:17], v[195:196], s[24:25], v[12:13]
	s_delay_alu instid0(VALU_DEP_1) | instskip(SKIP_1) | instid1(VALU_DEP_1)
	v_add_f64 v[8:9], v[16:17], v[8:9]
	v_mul_f64 v[16:17], v[233:234], s[40:41]
	v_fma_f64 v[18:19], v[217:218], s[38:39], v[16:17]
	s_delay_alu instid0(VALU_DEP_1) | instskip(SKIP_1) | instid1(VALU_DEP_1)
	;; [unrolled: 4-line block ×5, first 2 shown]
	v_add_f64 v[8:9], v[24:25], v[8:9]
	v_mul_f64 v[24:25], v[251:252], s[0:1]
	v_fma_f64 v[26:27], v[241:242], s[14:15], v[24:25]
	s_delay_alu instid0(VALU_DEP_1) | instskip(SKIP_2) | instid1(VALU_DEP_2)
	v_add_f64 v[197:198], v[26:27], v[4:5]
	v_mul_f64 v[4:5], v[0:1], s[14:15]
	v_mul_f64 v[0:1], v[0:1], s[8:9]
	v_fma_f64 v[26:27], v[14:15], s[34:35], v[4:5]
	v_fma_f64 v[4:5], v[14:15], s[0:1], v[4:5]
	s_delay_alu instid0(VALU_DEP_2) | instskip(SKIP_2) | instid1(VALU_DEP_2)
	v_add_f64 v[199:200], v[26:27], v[8:9]
	v_fma_f64 v[8:9], v[193:194], s[16:17], -v[10:11]
	v_mul_f64 v[10:11], v[225:226], s[10:11]
	v_add_f64 v[2:3], v[8:9], v[2:3]
	v_fma_f64 v[8:9], v[195:196], s[28:29], v[12:13]
	s_delay_alu instid0(VALU_DEP_3) | instskip(NEXT) | instid1(VALU_DEP_2)
	v_fma_f64 v[12:13], v[193:194], s[20:21], v[10:11]
	v_add_f64 v[6:7], v[8:9], v[6:7]
	v_fma_f64 v[8:9], v[217:218], s[38:39], -v[16:17]
	s_delay_alu instid0(VALU_DEP_1) | instskip(SKIP_1) | instid1(VALU_DEP_1)
	v_add_f64 v[2:3], v[8:9], v[2:3]
	v_fma_f64 v[8:9], v[219:220], s[40:41], v[18:19]
	v_add_f64 v[6:7], v[8:9], v[6:7]
	v_fma_f64 v[8:9], v[229:230], s[18:19], -v[20:21]
	s_delay_alu instid0(VALU_DEP_1) | instskip(SKIP_1) | instid1(VALU_DEP_1)
	v_add_f64 v[2:3], v[8:9], v[2:3]
	v_fma_f64 v[8:9], v[231:232], s[26:27], v[22:23]
	v_add_f64 v[6:7], v[8:9], v[6:7]
	v_fma_f64 v[8:9], v[241:242], s[14:15], -v[24:25]
	s_delay_alu instid0(VALU_DEP_2) | instskip(NEXT) | instid1(VALU_DEP_2)
	v_add_f64 v[190:191], v[4:5], v[6:7]
	v_add_f64 v[188:189], v[8:9], v[2:3]
	v_mul_f64 v[2:3], v[201:202], s[26:27]
	v_mul_f64 v[6:7], v[203:204], s[18:19]
	s_delay_alu instid0(VALU_DEP_2) | instskip(NEXT) | instid1(VALU_DEP_2)
	v_fma_f64 v[4:5], v[180:181], s[18:19], v[2:3]
	v_fma_f64 v[8:9], v[182:183], s[30:31], v[6:7]
	v_fma_f64 v[2:3], v[180:181], s[18:19], -v[2:3]
	s_delay_alu instid0(VALU_DEP_3) | instskip(NEXT) | instid1(VALU_DEP_3)
	v_add_f64 v[4:5], v[4:5], v[186:187]
	v_add_f64 v[8:9], v[8:9], v[184:185]
	s_delay_alu instid0(VALU_DEP_3) | instskip(NEXT) | instid1(VALU_DEP_3)
	v_add_f64 v[2:3], v[2:3], v[176:177]
	v_add_f64 v[4:5], v[12:13], v[4:5]
	v_mul_f64 v[12:13], v[227:228], s[20:21]
	s_delay_alu instid0(VALU_DEP_1) | instskip(NEXT) | instid1(VALU_DEP_1)
	v_fma_f64 v[16:17], v[195:196], s[36:37], v[12:13]
	v_add_f64 v[8:9], v[16:17], v[8:9]
	v_mul_f64 v[16:17], v[233:234], s[24:25]
	s_delay_alu instid0(VALU_DEP_1) | instskip(NEXT) | instid1(VALU_DEP_1)
	v_fma_f64 v[18:19], v[217:218], s[16:17], v[16:17]
	;; [unrolled: 4-line block ×6, first 2 shown]
	v_add_f64 v[184:185], v[26:27], v[4:5]
	v_fma_f64 v[4:5], v[14:15], s[12:13], v[0:1]
	v_fma_f64 v[0:1], v[14:15], s[22:23], v[0:1]
	s_delay_alu instid0(VALU_DEP_2)
	v_add_f64 v[186:187], v[4:5], v[8:9]
	v_fma_f64 v[4:5], v[182:183], s[26:27], v[6:7]
	v_fma_f64 v[6:7], v[193:194], s[20:21], -v[10:11]
	v_fma_f64 v[8:9], v[195:196], s[10:11], v[12:13]
	v_fma_f64 v[10:11], v[217:218], s[16:17], -v[16:17]
	v_fma_f64 v[12:13], v[219:220], s[24:25], v[18:19]
	v_add_f64 v[4:5], v[4:5], v[178:179]
	v_add_f64 v[2:3], v[6:7], v[2:3]
	v_fma_f64 v[6:7], v[229:230], s[14:15], -v[20:21]
	s_delay_alu instid0(VALU_DEP_3) | instskip(SKIP_1) | instid1(VALU_DEP_4)
	v_add_f64 v[4:5], v[8:9], v[4:5]
	v_fma_f64 v[8:9], v[231:232], s[0:1], v[22:23]
	v_add_f64 v[2:3], v[10:11], v[2:3]
	v_fma_f64 v[10:11], v[241:242], s[8:9], -v[24:25]
	s_delay_alu instid0(VALU_DEP_4) | instskip(NEXT) | instid1(VALU_DEP_3)
	v_add_f64 v[4:5], v[12:13], v[4:5]
	v_add_f64 v[2:3], v[6:7], v[2:3]
	s_delay_alu instid0(VALU_DEP_2) | instskip(NEXT) | instid1(VALU_DEP_2)
	v_add_f64 v[4:5], v[8:9], v[4:5]
	v_add_f64 v[176:177], v[10:11], v[2:3]
	;; [unrolled: 1-line block ×3, first 2 shown]
	s_delay_alu instid0(VALU_DEP_3) | instskip(SKIP_1) | instid1(VALU_DEP_3)
	v_add_f64 v[178:179], v[0:1], v[4:5]
	v_add_f64 v[0:1], v[172:173], v[160:161]
	;; [unrolled: 1-line block ×3, first 2 shown]
	s_delay_alu instid0(VALU_DEP_2) | instskip(NEXT) | instid1(VALU_DEP_2)
	v_add_f64 v[0:1], v[0:1], v[164:165]
	v_add_f64 v[2:3], v[2:3], v[128:129]
	s_delay_alu instid0(VALU_DEP_2) | instskip(NEXT) | instid1(VALU_DEP_2)
	v_add_f64 v[0:1], v[0:1], v[142:143]
	v_add_f64 v[2:3], v[2:3], v[148:149]
	;; [unrolled: 3-line block ×9, first 2 shown]
	s_delay_alu instid0(VALU_DEP_2)
	v_add_f64 v[128:129], v[0:1], v[170:171]
	ds_store_b128 v255, v[116:119] offset:416
	ds_store_b128 v255, v[221:224] offset:624
	;; [unrolled: 1-line block ×12, first 2 shown]
	ds_store_b128 v255, v[128:131]
	s_waitcnt lgkmcnt(0)
	s_barrier
	buffer_gl0_inv
	ds_load_b128 v[72:75], v254
	ds_load_b128 v[108:111], v254 offset:832
	ds_load_b128 v[132:135], v254 offset:5408
	;; [unrolled: 1-line block ×11, first 2 shown]
	s_and_saveexec_b32 s0, vcc_lo
	s_cbranch_execz .LBB0_7
; %bb.6:
	ds_load_b128 v[52:55], v254 offset:2496
	ds_load_b128 v[112:115], v254 offset:5200
	;; [unrolled: 1-line block ×4, first 2 shown]
.LBB0_7:
	s_or_b32 exec_lo, exec_lo, s0
	s_waitcnt lgkmcnt(7)
	v_mul_f64 v[0:1], v[58:59], v[154:155]
	v_mul_f64 v[2:3], v[58:59], v[152:153]
	v_mul_f64 v[4:5], v[78:79], v[134:135]
	v_mul_f64 v[6:7], v[78:79], v[132:133]
	s_waitcnt lgkmcnt(3)
	v_mul_f64 v[8:9], v[86:87], v[162:163]
	v_mul_f64 v[10:11], v[86:87], v[160:161]
	v_mul_f64 v[12:13], v[82:83], v[150:151]
	v_mul_f64 v[14:15], v[82:83], v[148:149]
	v_mul_f64 v[16:17], v[90:91], v[130:131]
	v_mul_f64 v[18:19], v[90:91], v[128:129]
	s_waitcnt lgkmcnt(1)
	v_mul_f64 v[20:21], v[94:95], v[158:159]
	v_mul_f64 v[22:23], v[94:95], v[156:157]
	;; [unrolled: 7-line block ×3, first 2 shown]
	v_fma_f64 v[0:1], v[56:57], v[152:153], v[0:1]
	v_fma_f64 v[2:3], v[56:57], v[154:155], -v[2:3]
	v_fma_f64 v[4:5], v[76:77], v[132:133], v[4:5]
	v_fma_f64 v[6:7], v[76:77], v[134:135], -v[6:7]
	;; [unrolled: 2-line block ×9, first 2 shown]
	v_add_f64 v[4:5], v[72:73], -v[4:5]
	v_add_f64 v[6:7], v[74:75], -v[6:7]
	;; [unrolled: 1-line block ×12, first 2 shown]
	v_fma_f64 v[36:37], v[72:73], 2.0, -v[4:5]
	v_fma_f64 v[38:39], v[74:75], 2.0, -v[6:7]
	v_fma_f64 v[0:1], v[0:1], 2.0, -v[8:9]
	v_fma_f64 v[2:3], v[2:3], 2.0, -v[10:11]
	v_add_f64 v[56:57], v[4:5], v[10:11]
	v_add_f64 v[58:59], v[6:7], -v[8:9]
	v_fma_f64 v[40:41], v[108:109], 2.0, -v[16:17]
	v_fma_f64 v[42:43], v[110:111], 2.0, -v[18:19]
	v_fma_f64 v[12:13], v[12:13], 2.0, -v[20:21]
	v_fma_f64 v[14:15], v[14:15], 2.0, -v[22:23]
	v_add_f64 v[72:73], v[16:17], v[22:23]
	v_add_f64 v[74:75], v[18:19], -v[20:21]
	;; [unrolled: 6-line block ×3, first 2 shown]
	v_add_f64 v[80:81], v[36:37], -v[0:1]
	v_add_f64 v[82:83], v[38:39], -v[2:3]
	v_fma_f64 v[92:93], v[4:5], 2.0, -v[56:57]
	v_fma_f64 v[94:95], v[6:7], 2.0, -v[58:59]
	v_add_f64 v[84:85], v[40:41], -v[12:13]
	v_add_f64 v[86:87], v[42:43], -v[14:15]
	v_fma_f64 v[96:97], v[16:17], 2.0, -v[72:73]
	v_fma_f64 v[98:99], v[18:19], 2.0, -v[74:75]
	;; [unrolled: 4-line block ×3, first 2 shown]
	v_fma_f64 v[104:105], v[36:37], 2.0, -v[80:81]
	v_fma_f64 v[106:107], v[38:39], 2.0, -v[82:83]
	;; [unrolled: 1-line block ×6, first 2 shown]
	ds_store_b128 v254, v[80:83] offset:5408
	ds_store_b128 v254, v[84:87] offset:6240
	;; [unrolled: 1-line block ×6, first 2 shown]
	ds_store_b128 v254, v[104:107]
	ds_store_b128 v254, v[108:111] offset:832
	ds_store_b128 v254, v[92:95] offset:2704
	;; [unrolled: 1-line block ×5, first 2 shown]
	s_and_saveexec_b32 s0, vcc_lo
	s_cbranch_execz .LBB0_9
; %bb.8:
	v_mul_f64 v[0:1], v[66:67], v[120:121]
	v_mul_f64 v[2:3], v[62:63], v[114:115]
	;; [unrolled: 1-line block ×6, first 2 shown]
	v_fma_f64 v[0:1], v[64:65], v[122:123], -v[0:1]
	v_fma_f64 v[2:3], v[60:61], v[112:113], v[2:3]
	v_fma_f64 v[4:5], v[60:61], v[114:115], -v[4:5]
	v_fma_f64 v[6:7], v[68:69], v[126:127], -v[6:7]
	v_fma_f64 v[8:9], v[64:65], v[120:121], v[8:9]
	v_fma_f64 v[10:11], v[68:69], v[124:125], v[10:11]
	v_add_f64 v[0:1], v[54:55], -v[0:1]
	s_delay_alu instid0(VALU_DEP_4) | instskip(NEXT) | instid1(VALU_DEP_4)
	v_add_f64 v[6:7], v[4:5], -v[6:7]
	v_add_f64 v[8:9], v[52:53], -v[8:9]
	s_delay_alu instid0(VALU_DEP_4) | instskip(NEXT) | instid1(VALU_DEP_4)
	v_add_f64 v[10:11], v[2:3], -v[10:11]
	v_fma_f64 v[12:13], v[54:55], 2.0, -v[0:1]
	s_delay_alu instid0(VALU_DEP_4) | instskip(NEXT) | instid1(VALU_DEP_4)
	v_fma_f64 v[4:5], v[4:5], 2.0, -v[6:7]
	v_fma_f64 v[14:15], v[52:53], 2.0, -v[8:9]
	s_delay_alu instid0(VALU_DEP_4) | instskip(SKIP_3) | instid1(VALU_DEP_4)
	v_fma_f64 v[2:3], v[2:3], 2.0, -v[10:11]
	v_add_f64 v[54:55], v[0:1], -v[10:11]
	v_add_f64 v[52:53], v[8:9], v[6:7]
	v_add_f64 v[58:59], v[12:13], -v[4:5]
	v_add_f64 v[56:57], v[14:15], -v[2:3]
	s_delay_alu instid0(VALU_DEP_4) | instskip(NEXT) | instid1(VALU_DEP_4)
	v_fma_f64 v[62:63], v[0:1], 2.0, -v[54:55]
	v_fma_f64 v[60:61], v[8:9], 2.0, -v[52:53]
	s_delay_alu instid0(VALU_DEP_4) | instskip(NEXT) | instid1(VALU_DEP_4)
	v_fma_f64 v[66:67], v[12:13], 2.0, -v[58:59]
	v_fma_f64 v[64:65], v[14:15], 2.0, -v[56:57]
	ds_store_b128 v254, v[64:67] offset:2496
	ds_store_b128 v254, v[60:63] offset:5200
	;; [unrolled: 1-line block ×4, first 2 shown]
.LBB0_9:
	s_or_b32 exec_lo, exec_lo, s0
	s_waitcnt lgkmcnt(0)
	s_barrier
	buffer_gl0_inv
	ds_load_b128 v[52:55], v254
	ds_load_b128 v[56:59], v254 offset:832
	s_clause 0x3
	scratch_load_b128 v[112:115], off, off offset:44
	scratch_load_b128 v[108:111], off, off offset:28
	scratch_load_b64 v[0:1], off, off offset:4
	scratch_load_b32 v19, off, off
	ds_load_b128 v[60:63], v254 offset:1664
	ds_load_b128 v[64:67], v254 offset:2496
	;; [unrolled: 1-line block ×11, first 2 shown]
	scratch_load_b128 v[104:107], off, off offset:12 ; 16-byte Folded Reload
	s_mov_b32 s0, 0x7ab2bedd
	s_mov_b32 s1, 0x3f583c97
	s_mul_hi_u32 s8, s4, 0x340
	s_waitcnt vmcnt(4) lgkmcnt(12)
	v_mul_f64 v[4:5], v[114:115], v[54:55]
	v_mul_f64 v[6:7], v[114:115], v[52:53]
	scratch_load_b128 v[114:117], off, off offset:60 ; 16-byte Folded Reload
	s_waitcnt vmcnt(3)
	v_mov_b32_e32 v18, v0
	s_waitcnt vmcnt(2)
	v_mad_u64_u32 v[2:3], null, s4, v19, 0
	s_waitcnt lgkmcnt(11)
	v_mul_f64 v[8:9], v[110:111], v[58:59]
	v_mul_f64 v[10:11], v[110:111], v[56:57]
	v_mad_u64_u32 v[0:1], null, s6, v18, 0
	s_waitcnt vmcnt(1) lgkmcnt(10)
	v_mul_f64 v[12:13], v[106:107], v[62:63]
	v_mul_f64 v[14:15], v[106:107], v[60:61]
	s_mul_i32 s6, s5, 0x340
	s_mulk_i32 s4, 0x340
	s_add_i32 s8, s8, s6
	s_delay_alu instid0(VALU_DEP_3) | instskip(NEXT) | instid1(VALU_DEP_1)
	v_mad_u64_u32 v[16:17], null, s7, v18, v[1:2]
	v_mov_b32_e32 v1, v16
	s_delay_alu instid0(VALU_DEP_1) | instskip(NEXT) | instid1(VALU_DEP_1)
	v_lshlrev_b64 v[0:1], 4, v[0:1]
	v_add_co_u32 v0, vcc_lo, s2, v0
	s_delay_alu instid0(VALU_DEP_2)
	v_add_co_ci_u32_e32 v1, vcc_lo, s3, v1, vcc_lo
	v_mad_u64_u32 v[17:18], null, s5, v19, v[3:4]
	v_fma_f64 v[4:5], v[112:113], v[52:53], v[4:5]
	v_fma_f64 v[6:7], v[112:113], v[54:55], -v[6:7]
	v_fma_f64 v[8:9], v[108:109], v[56:57], v[8:9]
	v_fma_f64 v[10:11], v[108:109], v[58:59], -v[10:11]
	scratch_load_b128 v[106:109], off, off offset:188 ; 16-byte Folded Reload
	v_mov_b32_e32 v3, v17
	v_fma_f64 v[12:13], v[104:105], v[60:61], v[12:13]
	v_fma_f64 v[14:15], v[104:105], v[62:63], -v[14:15]
	s_delay_alu instid0(VALU_DEP_3) | instskip(NEXT) | instid1(VALU_DEP_1)
	v_lshlrev_b64 v[2:3], 4, v[2:3]
	v_add_co_u32 v56, vcc_lo, v0, v2
	s_delay_alu instid0(VALU_DEP_2) | instskip(NEXT) | instid1(VALU_DEP_2)
	v_add_co_ci_u32_e32 v57, vcc_lo, v1, v3, vcc_lo
	v_add_co_u32 v58, vcc_lo, v56, s4
	s_delay_alu instid0(VALU_DEP_2) | instskip(NEXT) | instid1(VALU_DEP_2)
	v_add_co_ci_u32_e32 v59, vcc_lo, s8, v57, vcc_lo
	v_add_co_u32 v62, vcc_lo, v58, s4
	s_delay_alu instid0(VALU_DEP_2)
	v_add_co_ci_u32_e32 v63, vcc_lo, s8, v59, vcc_lo
	v_mul_f64 v[0:1], v[4:5], s[0:1]
	v_mul_f64 v[2:3], v[6:7], s[0:1]
	;; [unrolled: 1-line block ×6, first 2 shown]
	s_waitcnt vmcnt(1) lgkmcnt(9)
	v_mul_f64 v[18:19], v[116:117], v[66:67]
	v_mul_f64 v[20:21], v[116:117], v[64:65]
	scratch_load_b128 v[116:119], off, off offset:76 ; 16-byte Folded Reload
	v_fma_f64 v[18:19], v[114:115], v[64:65], v[18:19]
	v_fma_f64 v[20:21], v[114:115], v[66:67], -v[20:21]
	v_add_co_u32 v64, vcc_lo, v62, s4
	v_add_co_ci_u32_e32 v65, vcc_lo, s8, v63, vcc_lo
	s_waitcnt vmcnt(1) lgkmcnt(1)
	v_mul_f64 v[50:51], v[108:109], v[98:99]
	v_mul_f64 v[16:17], v[108:109], v[96:97]
	scratch_load_b128 v[108:111], off, off offset:204 ; 16-byte Folded Reload
	v_add_co_u32 v66, vcc_lo, v64, s4
	v_add_co_ci_u32_e32 v67, vcc_lo, s8, v65, vcc_lo
	v_mul_f64 v[12:13], v[18:19], s[0:1]
	v_mul_f64 v[14:15], v[20:21], s[0:1]
	v_fma_f64 v[50:51], v[106:107], v[96:97], v[50:51]
	v_fma_f64 v[60:61], v[106:107], v[98:99], -v[16:17]
	s_waitcnt vmcnt(1)
	v_mul_f64 v[22:23], v[118:119], v[70:71]
	v_mul_f64 v[24:25], v[118:119], v[68:69]
	scratch_load_b128 v[118:121], off, off offset:92 ; 16-byte Folded Reload
	v_fma_f64 v[22:23], v[116:117], v[68:69], v[22:23]
	v_fma_f64 v[24:25], v[116:117], v[70:71], -v[24:25]
	v_add_co_u32 v68, vcc_lo, v66, s4
	v_add_co_ci_u32_e32 v69, vcc_lo, s8, v67, vcc_lo
	s_waitcnt vmcnt(1) lgkmcnt(0)
	v_mul_f64 v[52:53], v[110:111], v[102:103]
	v_mul_f64 v[54:55], v[110:111], v[100:101]
	;; [unrolled: 1-line block ×4, first 2 shown]
	s_delay_alu instid0(VALU_DEP_4) | instskip(NEXT) | instid1(VALU_DEP_4)
	v_fma_f64 v[52:53], v[108:109], v[100:101], v[52:53]
	v_fma_f64 v[54:55], v[108:109], v[102:103], -v[54:55]
	s_waitcnt vmcnt(0)
	v_mul_f64 v[26:27], v[120:121], v[74:75]
	v_mul_f64 v[28:29], v[120:121], v[72:73]
	scratch_load_b128 v[120:123], off, off offset:108 ; 16-byte Folded Reload
	v_fma_f64 v[26:27], v[118:119], v[72:73], v[26:27]
	v_fma_f64 v[28:29], v[118:119], v[74:75], -v[28:29]
	s_delay_alu instid0(VALU_DEP_2) | instskip(NEXT) | instid1(VALU_DEP_2)
	v_mul_f64 v[20:21], v[26:27], s[0:1]
	v_mul_f64 v[22:23], v[28:29], s[0:1]
	s_waitcnt vmcnt(0)
	v_mul_f64 v[30:31], v[122:123], v[78:79]
	v_mul_f64 v[32:33], v[122:123], v[76:77]
	scratch_load_b128 v[122:125], off, off offset:124 ; 16-byte Folded Reload
	v_fma_f64 v[30:31], v[120:121], v[76:77], v[30:31]
	v_fma_f64 v[32:33], v[120:121], v[78:79], -v[32:33]
	s_delay_alu instid0(VALU_DEP_2) | instskip(NEXT) | instid1(VALU_DEP_2)
	v_mul_f64 v[24:25], v[30:31], s[0:1]
	v_mul_f64 v[26:27], v[32:33], s[0:1]
	;; [unrolled: 9-line block ×3, first 2 shown]
	v_mul_f64 v[36:37], v[50:51], s[0:1]
	s_waitcnt vmcnt(0)
	v_mul_f64 v[38:39], v[126:127], v[86:87]
	v_mul_f64 v[40:41], v[126:127], v[84:85]
	scratch_load_b128 v[126:129], off, off offset:156 ; 16-byte Folded Reload
	v_fma_f64 v[38:39], v[124:125], v[84:85], v[38:39]
	v_fma_f64 v[40:41], v[124:125], v[86:87], -v[40:41]
	s_delay_alu instid0(VALU_DEP_2) | instskip(NEXT) | instid1(VALU_DEP_2)
	v_mul_f64 v[32:33], v[38:39], s[0:1]
	v_mul_f64 v[34:35], v[40:41], s[0:1]
	;; [unrolled: 1-line block ×4, first 2 shown]
	s_waitcnt vmcnt(0)
	v_mul_f64 v[42:43], v[128:129], v[90:91]
	v_mul_f64 v[44:45], v[128:129], v[88:89]
	scratch_load_b128 v[128:131], off, off offset:172 ; 16-byte Folded Reload
	s_clause 0x4
	global_store_b128 v[56:57], v[0:3], off
	global_store_b128 v[58:59], v[4:7], off
	;; [unrolled: 1-line block ×6, first 2 shown]
	v_fma_f64 v[42:43], v[126:127], v[88:89], v[42:43]
	v_fma_f64 v[44:45], v[126:127], v[90:91], -v[44:45]
	s_delay_alu instid0(VALU_DEP_2) | instskip(NEXT) | instid1(VALU_DEP_2)
	v_mul_f64 v[0:1], v[42:43], s[0:1]
	v_mul_f64 v[2:3], v[44:45], s[0:1]
	;; [unrolled: 1-line block ×3, first 2 shown]
	v_add_co_u32 v44, vcc_lo, v68, s4
	v_add_co_ci_u32_e32 v45, vcc_lo, s8, v69, vcc_lo
	s_delay_alu instid0(VALU_DEP_2) | instskip(NEXT) | instid1(VALU_DEP_2)
	v_add_co_u32 v8, vcc_lo, v44, s4
	v_add_co_ci_u32_e32 v9, vcc_lo, s8, v45, vcc_lo
	global_store_b128 v[44:45], v[24:27], off
	v_add_co_u32 v10, vcc_lo, v8, s4
	v_add_co_ci_u32_e32 v11, vcc_lo, s8, v9, vcc_lo
	global_store_b128 v[8:9], v[28:31], off
	v_add_co_u32 v12, vcc_lo, v10, s4
	v_add_co_ci_u32_e32 v13, vcc_lo, s8, v11, vcc_lo
	s_delay_alu instid0(VALU_DEP_2) | instskip(NEXT) | instid1(VALU_DEP_2)
	v_add_co_u32 v14, vcc_lo, v12, s4
	v_add_co_ci_u32_e32 v15, vcc_lo, s8, v13, vcc_lo
	s_delay_alu instid0(VALU_DEP_2) | instskip(NEXT) | instid1(VALU_DEP_2)
	;; [unrolled: 3-line block ×3, first 2 shown]
	v_add_co_u32 v8, vcc_lo, v16, s4
	v_add_co_ci_u32_e32 v9, vcc_lo, s8, v17, vcc_lo
	s_waitcnt vmcnt(0)
	v_mul_f64 v[46:47], v[130:131], v[94:95]
	v_mul_f64 v[48:49], v[130:131], v[92:93]
	s_delay_alu instid0(VALU_DEP_2) | instskip(NEXT) | instid1(VALU_DEP_2)
	v_fma_f64 v[46:47], v[128:129], v[92:93], v[46:47]
	v_fma_f64 v[48:49], v[128:129], v[94:95], -v[48:49]
	s_delay_alu instid0(VALU_DEP_2) | instskip(NEXT) | instid1(VALU_DEP_2)
	v_mul_f64 v[4:5], v[46:47], s[0:1]
	v_mul_f64 v[6:7], v[48:49], s[0:1]
	global_store_b128 v[10:11], v[32:35], off
	global_store_b128 v[12:13], v[0:3], off
	;; [unrolled: 1-line block ×5, first 2 shown]
.LBB0_10:
	s_nop 0
	s_sendmsg sendmsg(MSG_DEALLOC_VGPRS)
	s_endpgm
	.section	.rodata,"a",@progbits
	.p2align	6, 0x0
	.amdhsa_kernel bluestein_single_back_len676_dim1_dp_op_CI_CI
		.amdhsa_group_segment_fixed_size 10816
		.amdhsa_private_segment_fixed_size 388
		.amdhsa_kernarg_size 104
		.amdhsa_user_sgpr_count 15
		.amdhsa_user_sgpr_dispatch_ptr 0
		.amdhsa_user_sgpr_queue_ptr 0
		.amdhsa_user_sgpr_kernarg_segment_ptr 1
		.amdhsa_user_sgpr_dispatch_id 0
		.amdhsa_user_sgpr_private_segment_size 0
		.amdhsa_wavefront_size32 1
		.amdhsa_uses_dynamic_stack 0
		.amdhsa_enable_private_segment 1
		.amdhsa_system_sgpr_workgroup_id_x 1
		.amdhsa_system_sgpr_workgroup_id_y 0
		.amdhsa_system_sgpr_workgroup_id_z 0
		.amdhsa_system_sgpr_workgroup_info 0
		.amdhsa_system_vgpr_workitem_id 0
		.amdhsa_next_free_vgpr 256
		.amdhsa_next_free_sgpr 46
		.amdhsa_reserve_vcc 1
		.amdhsa_float_round_mode_32 0
		.amdhsa_float_round_mode_16_64 0
		.amdhsa_float_denorm_mode_32 3
		.amdhsa_float_denorm_mode_16_64 3
		.amdhsa_dx10_clamp 1
		.amdhsa_ieee_mode 1
		.amdhsa_fp16_overflow 0
		.amdhsa_workgroup_processor_mode 1
		.amdhsa_memory_ordered 1
		.amdhsa_forward_progress 0
		.amdhsa_shared_vgpr_count 0
		.amdhsa_exception_fp_ieee_invalid_op 0
		.amdhsa_exception_fp_denorm_src 0
		.amdhsa_exception_fp_ieee_div_zero 0
		.amdhsa_exception_fp_ieee_overflow 0
		.amdhsa_exception_fp_ieee_underflow 0
		.amdhsa_exception_fp_ieee_inexact 0
		.amdhsa_exception_int_div_zero 0
	.end_amdhsa_kernel
	.text
.Lfunc_end0:
	.size	bluestein_single_back_len676_dim1_dp_op_CI_CI, .Lfunc_end0-bluestein_single_back_len676_dim1_dp_op_CI_CI
                                        ; -- End function
	.section	.AMDGPU.csdata,"",@progbits
; Kernel info:
; codeLenInByte = 23964
; NumSgprs: 48
; NumVgprs: 256
; ScratchSize: 388
; MemoryBound: 0
; FloatMode: 240
; IeeeMode: 1
; LDSByteSize: 10816 bytes/workgroup (compile time only)
; SGPRBlocks: 5
; VGPRBlocks: 31
; NumSGPRsForWavesPerEU: 48
; NumVGPRsForWavesPerEU: 256
; Occupancy: 5
; WaveLimiterHint : 1
; COMPUTE_PGM_RSRC2:SCRATCH_EN: 1
; COMPUTE_PGM_RSRC2:USER_SGPR: 15
; COMPUTE_PGM_RSRC2:TRAP_HANDLER: 0
; COMPUTE_PGM_RSRC2:TGID_X_EN: 1
; COMPUTE_PGM_RSRC2:TGID_Y_EN: 0
; COMPUTE_PGM_RSRC2:TGID_Z_EN: 0
; COMPUTE_PGM_RSRC2:TIDIG_COMP_CNT: 0
	.text
	.p2alignl 7, 3214868480
	.fill 96, 4, 3214868480
	.type	__hip_cuid_b973f4ad186dce55,@object ; @__hip_cuid_b973f4ad186dce55
	.section	.bss,"aw",@nobits
	.globl	__hip_cuid_b973f4ad186dce55
__hip_cuid_b973f4ad186dce55:
	.byte	0                               ; 0x0
	.size	__hip_cuid_b973f4ad186dce55, 1

	.ident	"AMD clang version 19.0.0git (https://github.com/RadeonOpenCompute/llvm-project roc-6.4.0 25133 c7fe45cf4b819c5991fe208aaa96edf142730f1d)"
	.section	".note.GNU-stack","",@progbits
	.addrsig
	.addrsig_sym __hip_cuid_b973f4ad186dce55
	.amdgpu_metadata
---
amdhsa.kernels:
  - .args:
      - .actual_access:  read_only
        .address_space:  global
        .offset:         0
        .size:           8
        .value_kind:     global_buffer
      - .actual_access:  read_only
        .address_space:  global
        .offset:         8
        .size:           8
        .value_kind:     global_buffer
      - .actual_access:  read_only
        .address_space:  global
        .offset:         16
        .size:           8
        .value_kind:     global_buffer
      - .actual_access:  read_only
        .address_space:  global
        .offset:         24
        .size:           8
        .value_kind:     global_buffer
      - .actual_access:  read_only
        .address_space:  global
        .offset:         32
        .size:           8
        .value_kind:     global_buffer
      - .offset:         40
        .size:           8
        .value_kind:     by_value
      - .address_space:  global
        .offset:         48
        .size:           8
        .value_kind:     global_buffer
      - .address_space:  global
        .offset:         56
        .size:           8
        .value_kind:     global_buffer
      - .address_space:  global
        .offset:         64
        .size:           8
        .value_kind:     global_buffer
      - .address_space:  global
        .offset:         72
        .size:           8
        .value_kind:     global_buffer
      - .offset:         80
        .size:           4
        .value_kind:     by_value
      - .address_space:  global
        .offset:         88
        .size:           8
        .value_kind:     global_buffer
      - .address_space:  global
        .offset:         96
        .size:           8
        .value_kind:     global_buffer
    .group_segment_fixed_size: 10816
    .kernarg_segment_align: 8
    .kernarg_segment_size: 104
    .language:       OpenCL C
    .language_version:
      - 2
      - 0
    .max_flat_workgroup_size: 52
    .name:           bluestein_single_back_len676_dim1_dp_op_CI_CI
    .private_segment_fixed_size: 388
    .sgpr_count:     48
    .sgpr_spill_count: 0
    .symbol:         bluestein_single_back_len676_dim1_dp_op_CI_CI.kd
    .uniform_work_group_size: 1
    .uses_dynamic_stack: false
    .vgpr_count:     256
    .vgpr_spill_count: 96
    .wavefront_size: 32
    .workgroup_processor_mode: 1
amdhsa.target:   amdgcn-amd-amdhsa--gfx1100
amdhsa.version:
  - 1
  - 2
...

	.end_amdgpu_metadata
